;; amdgpu-corpus repo=ROCm/rocFFT kind=compiled arch=gfx906 opt=O3
	.text
	.amdgcn_target "amdgcn-amd-amdhsa--gfx906"
	.amdhsa_code_object_version 6
	.protected	bluestein_single_back_len476_dim1_sp_op_CI_CI ; -- Begin function bluestein_single_back_len476_dim1_sp_op_CI_CI
	.globl	bluestein_single_back_len476_dim1_sp_op_CI_CI
	.p2align	8
	.type	bluestein_single_back_len476_dim1_sp_op_CI_CI,@function
bluestein_single_back_len476_dim1_sp_op_CI_CI: ; @bluestein_single_back_len476_dim1_sp_op_CI_CI
; %bb.0:
	v_mul_u32_u24_e32 v1, 0x788, v0
	s_load_dwordx4 s[0:3], s[4:5], 0x28
	v_lshrrev_b32_e32 v1, 16, v1
	v_mad_u64_u32 v[44:45], s[6:7], s6, 3, v[1:2]
	v_mov_b32_e32 v45, 0
	s_waitcnt lgkmcnt(0)
	v_cmp_gt_u64_e32 vcc, s[0:1], v[44:45]
	s_and_saveexec_b64 s[0:1], vcc
	s_cbranch_execz .LBB0_15
; %bb.1:
	s_mov_b32 s0, 0xaaaaaaab
	v_mul_hi_u32 v2, v44, s0
	v_mul_lo_u16_e32 v1, 34, v1
	s_load_dwordx2 s[12:13], s[4:5], 0x0
	s_load_dwordx2 s[14:15], s[4:5], 0x38
	v_sub_u16_e32 v89, v0, v1
	v_lshrrev_b32_e32 v0, 1, v2
	v_lshl_add_u32 v0, v0, 1, v0
	v_sub_u32_e32 v0, v44, v0
	v_mul_u32_u24_e32 v91, 0x1dc, v0
	v_cmp_gt_u16_e32 vcc, 28, v89
	v_lshlrev_b32_e32 v90, 3, v89
	v_lshlrev_b32_e32 v92, 3, v91
	s_and_saveexec_b64 s[6:7], vcc
	s_cbranch_execz .LBB0_3
; %bb.2:
	s_load_dwordx2 s[0:1], s[4:5], 0x18
	v_or_b32_e32 v28, 0xe0, v89
	v_or_b32_e32 v65, 0x1c0, v89
	s_waitcnt lgkmcnt(0)
	s_load_dwordx4 s[8:11], s[0:1], 0x0
	s_waitcnt lgkmcnt(0)
	v_mad_u64_u32 v[0:1], s[0:1], s10, v44, 0
	v_mad_u64_u32 v[2:3], s[0:1], s8, v89, 0
	;; [unrolled: 1-line block ×4, first 2 shown]
	v_mov_b32_e32 v1, v4
	v_lshlrev_b64 v[0:1], 3, v[0:1]
	v_mov_b32_e32 v3, v5
	v_mov_b32_e32 v6, s3
	v_lshlrev_b64 v[2:3], 3, v[2:3]
	v_add_co_u32_e64 v43, s[0:1], s2, v0
	v_addc_co_u32_e64 v72, s[0:1], v6, v1, s[0:1]
	v_add_co_u32_e64 v0, s[0:1], v43, v2
	v_addc_co_u32_e64 v1, s[0:1], v72, v3, s[0:1]
	s_mul_i32 s0, s9, 0xe0
	s_mul_hi_u32 s3, s8, 0xe0
	s_add_i32 s3, s3, s0
	s_mul_i32 s2, s8, 0xe0
	v_mov_b32_e32 v3, s3
	v_add_co_u32_e64 v2, s[0:1], s2, v0
	v_addc_co_u32_e64 v3, s[0:1], v1, v3, s[0:1]
	v_mov_b32_e32 v5, s3
	v_add_co_u32_e64 v4, s[0:1], s2, v2
	v_addc_co_u32_e64 v5, s[0:1], v3, v5, s[0:1]
	;; [unrolled: 3-line block ×3, first 2 shown]
	global_load_dwordx2 v[8:9], v[0:1], off
	global_load_dwordx2 v[10:11], v[2:3], off
	;; [unrolled: 1-line block ×4, first 2 shown]
	global_load_dwordx2 v[16:17], v90, s[12:13]
	global_load_dwordx2 v[18:19], v90, s[12:13] offset:224
	global_load_dwordx2 v[20:21], v90, s[12:13] offset:448
	;; [unrolled: 1-line block ×3, first 2 shown]
	v_mov_b32_e32 v1, s3
	v_add_co_u32_e64 v0, s[0:1], s2, v6
	v_addc_co_u32_e64 v1, s[0:1], v7, v1, s[0:1]
	global_load_dwordx2 v[2:3], v[0:1], off
	v_mov_b32_e32 v4, s3
	v_add_co_u32_e64 v0, s[0:1], s2, v0
	v_addc_co_u32_e64 v1, s[0:1], v1, v4, s[0:1]
	global_load_dwordx2 v[4:5], v[0:1], off
	v_mov_b32_e32 v6, s3
	v_add_co_u32_e64 v0, s[0:1], s2, v0
	v_addc_co_u32_e64 v1, s[0:1], v1, v6, s[0:1]
	v_mad_u64_u32 v[24:25], s[0:1], s8, v28, 0
	global_load_dwordx2 v[6:7], v[0:1], off
	v_mov_b32_e32 v26, s3
	v_add_co_u32_e64 v0, s[0:1], s2, v0
	v_addc_co_u32_e64 v1, s[0:1], v1, v26, s[0:1]
	global_load_dwordx2 v[26:27], v[0:1], off
	s_waitcnt vmcnt(0)
	v_mad_u64_u32 v[28:29], s[0:1], s9, v28, v[25:26]
	global_load_dwordx2 v[29:30], v90, s[12:13] offset:896
	global_load_dwordx2 v[31:32], v90, s[12:13] offset:1120
	;; [unrolled: 1-line block ×4, first 2 shown]
	v_mov_b32_e32 v25, v28
	v_lshlrev_b64 v[24:25], 3, v[24:25]
	v_mov_b32_e32 v28, 0x1c0
	v_mad_u64_u32 v[0:1], s[0:1], s8, v28, v[0:1]
	v_add_co_u32_e64 v24, s[0:1], v43, v24
	v_addc_co_u32_e64 v25, s[0:1], v72, v25, s[0:1]
	s_mul_i32 s0, s9, 0x1c0
	v_add_u32_e32 v1, s0, v1
	global_load_dwordx2 v[37:38], v[0:1], off
	v_mov_b32_e32 v28, s3
	v_add_co_u32_e64 v0, s[0:1], s2, v0
	v_addc_co_u32_e64 v1, s[0:1], v1, v28, s[0:1]
	global_load_dwordx2 v[39:40], v[0:1], off
	v_add_co_u32_e64 v0, s[0:1], s2, v0
	v_addc_co_u32_e64 v1, s[0:1], v1, v28, s[0:1]
	global_load_dwordx2 v[24:25], v[24:25], off
	s_nop 0
	global_load_dwordx2 v[41:42], v[0:1], off
	global_load_dwordx2 v[45:46], v90, s[12:13] offset:1792
	global_load_dwordx2 v[47:48], v90, s[12:13] offset:2016
	;; [unrolled: 1-line block ×4, first 2 shown]
	v_add_co_u32_e64 v0, s[0:1], s2, v0
	v_addc_co_u32_e64 v1, s[0:1], v1, v28, s[0:1]
	global_load_dwordx2 v[53:54], v[0:1], off
	global_load_dwordx2 v[55:56], v90, s[12:13] offset:2688
	v_add_co_u32_e64 v0, s[0:1], s2, v0
	v_addc_co_u32_e64 v1, s[0:1], v1, v28, s[0:1]
	global_load_dwordx2 v[57:58], v[0:1], off
	v_add_co_u32_e64 v0, s[0:1], s2, v0
	v_addc_co_u32_e64 v1, s[0:1], v1, v28, s[0:1]
	v_mad_u64_u32 v[61:62], s[0:1], s8, v65, 0
	global_load_dwordx2 v[59:60], v[0:1], off
	v_add_co_u32_e64 v0, s[0:1], s2, v0
	v_addc_co_u32_e64 v1, s[0:1], v1, v28, s[0:1]
	v_mov_b32_e32 v28, v62
	global_load_dwordx2 v[63:64], v90, s[12:13] offset:2912
	s_waitcnt vmcnt(16)
	v_mad_u64_u32 v[65:66], s[0:1], s9, v65, v[28:29]
	global_load_dwordx2 v[66:67], v[0:1], off
	global_load_dwordx2 v[68:69], v90, s[12:13] offset:3136
	global_load_dwordx2 v[70:71], v90, s[12:13] offset:3360
	v_lshl_add_u32 v28, v89, 3, v92
	v_mov_b32_e32 v62, v65
	v_lshlrev_b64 v[0:1], 3, v[61:62]
	v_add_co_u32_e64 v0, s[0:1], v43, v0
	v_addc_co_u32_e64 v1, s[0:1], v72, v1, s[0:1]
	global_load_dwordx2 v[61:62], v[0:1], off
	global_load_dwordx2 v[72:73], v90, s[12:13] offset:3584
	v_mul_f32_e32 v0, v9, v17
	v_mul_f32_e32 v1, v8, v17
	v_fmac_f32_e32 v0, v8, v16
	v_fma_f32 v1, v9, v16, -v1
	ds_write_b64 v28, v[0:1]
	v_mul_f32_e32 v0, v11, v19
	v_mul_f32_e32 v1, v10, v19
	;; [unrolled: 1-line block ×4, first 2 shown]
	v_fmac_f32_e32 v0, v10, v18
	v_add_u32_e32 v16, v92, v90
	v_fma_f32 v1, v11, v18, -v1
	v_fmac_f32_e32 v8, v12, v20
	v_fma_f32 v9, v13, v20, -v9
	ds_write2_b64 v16, v[0:1], v[8:9] offset0:28 offset1:56
	v_mul_f32_e32 v8, v3, v30
	v_mul_f32_e32 v0, v15, v23
	;; [unrolled: 1-line block ×3, first 2 shown]
	v_fmac_f32_e32 v8, v2, v29
	v_mul_f32_e32 v2, v2, v30
	v_fmac_f32_e32 v0, v14, v22
	v_fma_f32 v1, v15, v22, -v1
	v_fma_f32 v9, v3, v29, -v2
	ds_write2_b64 v16, v[0:1], v[8:9] offset0:84 offset1:112
	s_waitcnt vmcnt(20)
	v_mul_f32_e32 v0, v5, v32
	v_mul_f32_e32 v1, v4, v32
	s_waitcnt vmcnt(19)
	v_mul_f32_e32 v2, v7, v34
	v_mul_f32_e32 v3, v6, v34
	v_fmac_f32_e32 v0, v4, v31
	v_fma_f32 v1, v5, v31, -v1
	v_fmac_f32_e32 v2, v6, v33
	v_fma_f32 v3, v7, v33, -v3
	ds_write2_b64 v16, v[0:1], v[2:3] offset0:140 offset1:168
	s_waitcnt vmcnt(18)
	v_mul_f32_e32 v0, v27, v36
	v_mul_f32_e32 v1, v26, v36
	s_waitcnt vmcnt(13)
	v_mul_f32_e32 v2, v25, v46
	v_mul_f32_e32 v3, v24, v46
	v_fmac_f32_e32 v0, v26, v35
	v_fma_f32 v1, v27, v35, -v1
	v_fmac_f32_e32 v2, v24, v45
	;; [unrolled: 11-line block ×3, first 2 shown]
	v_fma_f32 v3, v40, v49, -v3
	v_add_u32_e32 v4, 0x400, v16
	ds_write2_b64 v4, v[0:1], v[2:3] offset0:124 offset1:152
	s_waitcnt vmcnt(10)
	v_mul_f32_e32 v0, v42, v52
	v_mul_f32_e32 v1, v41, v52
	s_waitcnt vmcnt(8)
	v_mul_f32_e32 v2, v54, v56
	v_mul_f32_e32 v3, v53, v56
	v_fmac_f32_e32 v0, v41, v51
	v_fma_f32 v1, v42, v51, -v1
	v_fmac_f32_e32 v2, v53, v55
	v_fma_f32 v3, v54, v55, -v3
	v_add_u32_e32 v4, 0x800, v16
	ds_write2_b64 v4, v[0:1], v[2:3] offset0:52 offset1:80
	s_waitcnt vmcnt(5)
	v_mul_f32_e32 v0, v58, v64
	v_mul_f32_e32 v1, v57, v64
	v_fmac_f32_e32 v0, v57, v63
	v_fma_f32 v1, v58, v63, -v1
	s_waitcnt vmcnt(3)
	v_mul_f32_e32 v2, v60, v69
	v_mul_f32_e32 v3, v59, v69
	v_fmac_f32_e32 v2, v59, v68
	v_fma_f32 v3, v60, v68, -v3
	ds_write2_b64 v4, v[0:1], v[2:3] offset0:108 offset1:136
	s_waitcnt vmcnt(2)
	v_mul_f32_e32 v0, v67, v71
	v_mul_f32_e32 v1, v66, v71
	v_fmac_f32_e32 v0, v66, v70
	v_fma_f32 v1, v67, v70, -v1
	s_waitcnt vmcnt(0)
	v_mul_f32_e32 v2, v62, v73
	v_mul_f32_e32 v3, v61, v73
	v_fmac_f32_e32 v2, v61, v72
	v_fma_f32 v3, v62, v72, -v3
	ds_write2_b64 v4, v[0:1], v[2:3] offset0:164 offset1:192
.LBB0_3:
	s_or_b64 exec, exec, s[6:7]
	s_load_dwordx2 s[0:1], s[4:5], 0x20
	s_load_dwordx2 s[2:3], s[4:5], 0x8
	v_mov_b32_e32 v4, 0
	v_mov_b32_e32 v5, 0
	s_waitcnt lgkmcnt(0)
	s_barrier
	s_waitcnt lgkmcnt(0)
                                        ; implicit-def: $vgpr14
                                        ; implicit-def: $vgpr32
                                        ; implicit-def: $vgpr36
                                        ; implicit-def: $vgpr30
                                        ; implicit-def: $vgpr26
                                        ; implicit-def: $vgpr22
                                        ; implicit-def: $vgpr18
                                        ; implicit-def: $vgpr10
	s_and_saveexec_b64 s[4:5], vcc
	s_cbranch_execz .LBB0_5
; %bb.4:
	v_lshl_add_u32 v0, v91, 3, v90
	ds_read2_b64 v[4:7], v0 offset1:28
	ds_read2_b64 v[8:11], v0 offset0:56 offset1:84
	ds_read2_b64 v[16:19], v0 offset0:112 offset1:140
	;; [unrolled: 1-line block ×4, first 2 shown]
	v_add_u32_e32 v1, 0x800, v0
	ds_read2_b64 v[28:31], v1 offset0:24 offset1:52
	ds_read2_b64 v[12:15], v1 offset0:80 offset1:108
	;; [unrolled: 1-line block ×3, first 2 shown]
	ds_read_b64 v[36:37], v0 offset:3584
.LBB0_5:
	s_or_b64 exec, exec, s[4:5]
	s_waitcnt lgkmcnt(0)
	v_sub_f32_e32 v78, v7, v37
	v_mul_f32_e32 v53, 0xbeb8f4ab, v78
	v_sub_f32_e32 v80, v9, v35
	v_add_f32_e32 v47, v36, v6
	v_sub_f32_e32 v81, v6, v36
	v_mov_b32_e32 v0, v53
	v_mul_f32_e32 v56, 0xbf2c7751, v80
	v_add_f32_e32 v48, v37, v7
	s_mov_b32 s6, 0x3f6eb680
	v_mul_f32_e32 v58, 0xbeb8f4ab, v81
	v_fmac_f32_e32 v0, 0x3f6eb680, v47
	v_add_f32_e32 v49, v34, v8
	v_sub_f32_e32 v83, v8, v34
	v_mov_b32_e32 v2, v56
	v_add_f32_e32 v0, v0, v4
	v_fma_f32 v1, v48, s6, -v58
	s_mov_b32 s7, 0x3f3d2fb0
	v_add_f32_e32 v50, v35, v9
	v_mul_f32_e32 v62, 0xbf2c7751, v83
	v_fmac_f32_e32 v2, 0x3f3d2fb0, v49
	v_sub_f32_e32 v82, v11, v33
	v_add_f32_e32 v1, v1, v5
	v_add_f32_e32 v0, v2, v0
	v_fma_f32 v2, v50, s7, -v62
	v_mul_f32_e32 v61, 0xbf65296c, v82
	v_add_f32_e32 v1, v2, v1
	v_add_f32_e32 v51, v32, v10
	v_sub_f32_e32 v85, v10, v32
	v_mov_b32_e32 v2, v61
	s_mov_b32 s8, 0x3ee437d1
	v_add_f32_e32 v52, v33, v11
	v_mul_f32_e32 v66, 0xbf65296c, v85
	v_fmac_f32_e32 v2, 0x3ee437d1, v51
	v_sub_f32_e32 v84, v17, v15
	v_add_f32_e32 v0, v2, v0
	v_fma_f32 v2, v52, s8, -v66
	v_mul_f32_e32 v65, 0xbf7ee86f, v84
	v_add_f32_e32 v1, v2, v1
	v_add_f32_e32 v54, v14, v16
	v_sub_f32_e32 v96, v16, v14
	v_mov_b32_e32 v2, v65
	s_mov_b32 s10, 0x3dbcf732
	v_add_f32_e32 v55, v15, v17
	v_mul_f32_e32 v69, 0xbf7ee86f, v96
	v_fmac_f32_e32 v2, 0x3dbcf732, v54
	v_sub_f32_e32 v94, v19, v13
	;; [unrolled: 12-line block ×5, first 2 shown]
	v_add_f32_e32 v0, v2, v0
	v_fma_f32 v2, v68, s17, -v76
	v_mul_f32_e32 v77, 0xbe3c28d5, v112
	v_add_f32_e32 v1, v2, v1
	v_add_f32_e32 v67, v26, v24
	v_mov_b32_e32 v2, v77
	v_sub_f32_e32 v114, v24, v26
	s_mov_b32 s11, 0xbf7ba420
	v_fmac_f32_e32 v2, 0xbf7ba420, v67
	v_add_f32_e32 v73, v27, v25
	v_mul_f32_e32 v79, 0xbe3c28d5, v114
	v_add_f32_e32 v45, v2, v0
	v_fma_f32 v0, v73, s11, -v79
	v_mul_f32_e32 v86, 0xbf2c7751, v78
	v_add_f32_e32 v46, v0, v1
	v_mov_b32_e32 v0, v86
	v_mul_f32_e32 v87, 0xbf7ee86f, v80
	v_fmac_f32_e32 v0, 0x3f3d2fb0, v47
	v_mov_b32_e32 v1, v87
	v_add_f32_e32 v0, v0, v4
	v_fmac_f32_e32 v1, 0x3dbcf732, v49
	v_mul_f32_e32 v101, 0xbf2c7751, v81
	v_add_f32_e32 v0, v1, v0
	v_fma_f32 v1, v48, s7, -v101
	v_mul_f32_e32 v102, 0xbf7ee86f, v83
	v_add_f32_e32 v1, v1, v5
	v_fma_f32 v2, v50, s10, -v102
	v_mul_f32_e32 v88, 0xbf4c4adb, v82
	v_add_f32_e32 v1, v2, v1
	v_mov_b32_e32 v2, v88
	v_fmac_f32_e32 v2, 0xbf1a4643, v51
	v_mul_f32_e32 v104, 0xbf4c4adb, v85
	v_add_f32_e32 v0, v2, v0
	v_fma_f32 v2, v52, s9, -v104
	v_mul_f32_e32 v93, 0xbe3c28d5, v84
	v_add_f32_e32 v1, v2, v1
	v_mov_b32_e32 v2, v93
	v_fmac_f32_e32 v2, 0xbf7ba420, v54
	;; [unrolled: 7-line block ×6, first 2 shown]
	v_mul_f32_e32 v110, 0x3eb8f4ab, v114
	v_mul_f32_e32 v115, 0xbf65296c, v78
	v_fma_f32 v3, v73, s6, -v110
	v_add_f32_e32 v2, v2, v0
	v_mov_b32_e32 v0, v115
	v_mul_f32_e32 v116, 0xbf4c4adb, v80
	v_add_f32_e32 v3, v3, v1
	v_fmac_f32_e32 v0, 0x3ee437d1, v47
	v_mov_b32_e32 v1, v116
	v_add_f32_e32 v0, v0, v4
	v_fmac_f32_e32 v1, 0xbf1a4643, v49
	v_mul_f32_e32 v117, 0x3e3c28d5, v82
	v_add_f32_e32 v0, v1, v0
	v_mov_b32_e32 v1, v117
	v_fmac_f32_e32 v1, 0xbf7ba420, v51
	v_mul_f32_e32 v118, 0x3f763a35, v84
	v_add_f32_e32 v0, v1, v0
	v_mov_b32_e32 v1, v118
	;; [unrolled: 4-line block ×6, first 2 shown]
	v_fmac_f32_e32 v1, 0xbf59a7d5, v67
	v_mul_f32_e32 v129, 0xbf65296c, v81
	v_add_f32_e32 v0, v1, v0
	v_fma_f32 v1, v48, s8, -v129
	v_mul_f32_e32 v130, 0xbf4c4adb, v83
	v_add_f32_e32 v1, v1, v5
	v_fma_f32 v38, v50, s9, -v130
	;; [unrolled: 3-line block ×8, first 2 shown]
	v_add_f32_e32 v1, v38, v1
	s_barrier
	s_and_saveexec_b64 s[4:5], vcc
	s_cbranch_execz .LBB0_7
; %bb.6:
	v_mul_f32_e32 v139, 0xbe8c1d8e, v48
	v_mov_b32_e32 v38, v139
	v_mul_f32_e32 v140, 0xbf59a7d5, v50
	v_fmac_f32_e32 v38, 0x3f763a35, v81
	v_mov_b32_e32 v39, v140
	v_add_f32_e32 v38, v38, v5
	v_fmac_f32_e32 v39, 0xbf06c442, v83
	v_mul_f32_e32 v141, 0x3f3d2fb0, v52
	v_add_f32_e32 v38, v39, v38
	v_mov_b32_e32 v39, v141
	v_fmac_f32_e32 v39, 0xbf2c7751, v85
	v_mul_f32_e32 v142, 0x3ee437d1, v55
	v_add_f32_e32 v38, v39, v38
	v_mov_b32_e32 v39, v142
	v_fmac_f32_e32 v39, 0x3f65296c, v96
	v_mul_f32_e32 v143, 0xbf7ba420, v59
	v_add_f32_e32 v38, v39, v38
	v_mov_b32_e32 v39, v143
	v_fmac_f32_e32 v39, 0x3e3c28d5, v103
	v_mul_f32_e32 v144, 0x3dbcf732, v64
	v_add_f32_e32 v38, v39, v38
	v_mov_b32_e32 v39, v144
	v_fmac_f32_e32 v39, 0xbf7ee86f, v111
	v_mul_f32_e32 v145, 0x3f6eb680, v68
	v_add_f32_e32 v38, v39, v38
	v_mov_b32_e32 v39, v145
	v_fmac_f32_e32 v39, 0x3eb8f4ab, v113
	v_mul_f32_e32 v146, 0xbf763a35, v78
	v_add_f32_e32 v38, v39, v38
	v_mov_b32_e32 v39, v146
	v_mul_f32_e32 v147, 0x3f06c442, v80
	v_fmac_f32_e32 v39, 0xbe8c1d8e, v47
	v_mov_b32_e32 v40, v147
	v_add_f32_e32 v39, v39, v4
	v_fmac_f32_e32 v40, 0xbf59a7d5, v49
	v_mul_f32_e32 v148, 0x3f2c7751, v82
	v_add_f32_e32 v39, v40, v39
	v_mov_b32_e32 v40, v148
	v_fmac_f32_e32 v40, 0x3f3d2fb0, v51
	v_mul_f32_e32 v149, 0xbf65296c, v84
	v_add_f32_e32 v39, v40, v39
	v_mov_b32_e32 v40, v149
	v_fmac_f32_e32 v40, 0x3ee437d1, v54
	v_mul_f32_e32 v150, 0xbe3c28d5, v94
	v_add_f32_e32 v39, v40, v39
	v_mov_b32_e32 v40, v150
	v_fmac_f32_e32 v40, 0xbf7ba420, v57
	v_mul_f32_e32 v151, 0x3f7ee86f, v100
	v_add_f32_e32 v39, v40, v39
	v_mov_b32_e32 v40, v151
	v_fmac_f32_e32 v40, 0x3dbcf732, v60
	v_mul_f32_e32 v152, 0xbeb8f4ab, v109
	v_add_f32_e32 v39, v40, v39
	v_mov_b32_e32 v40, v152
	v_fmac_f32_e32 v40, 0x3f6eb680, v63
	v_mul_f32_e32 v153, 0xbf1a4643, v73
	v_add_f32_e32 v40, v40, v39
	v_mov_b32_e32 v39, v153
	v_fmac_f32_e32 v39, 0x3f4c4adb, v114
	v_mul_f32_e32 v154, 0xbf4c4adb, v112
	v_add_f32_e32 v39, v39, v38
	v_mov_b32_e32 v38, v154
	v_fmac_f32_e32 v38, 0xbf1a4643, v67
	v_mul_f32_e32 v137, 0xbf1a4643, v48
	v_add_f32_e32 v38, v38, v40
	v_mov_b32_e32 v40, v137
	v_mul_f32_e32 v138, 0xbe8c1d8e, v50
	v_fmac_f32_e32 v40, 0x3f4c4adb, v81
	v_mov_b32_e32 v41, v138
	v_add_f32_e32 v40, v40, v5
	v_fmac_f32_e32 v41, 0xbf763a35, v83
	v_mul_f32_e32 v155, 0x3f6eb680, v52
	v_add_f32_e32 v40, v41, v40
	v_mov_b32_e32 v41, v155
	v_fmac_f32_e32 v41, 0x3eb8f4ab, v85
	v_mul_f32_e32 v156, 0xbf59a7d5, v55
	v_add_f32_e32 v40, v41, v40
	v_mov_b32_e32 v41, v156
	v_fmac_f32_e32 v41, 0x3f06c442, v96
	v_mul_f32_e32 v157, 0x3dbcf732, v59
	v_add_f32_e32 v40, v41, v40
	v_mov_b32_e32 v41, v157
	v_fmac_f32_e32 v41, 0xbf7ee86f, v103
	v_mul_f32_e32 v158, 0x3f3d2fb0, v64
	v_add_f32_e32 v40, v41, v40
	v_mov_b32_e32 v41, v158
	v_fmac_f32_e32 v41, 0x3f2c7751, v111
	v_mul_f32_e32 v159, 0xbf7ba420, v68
	v_add_f32_e32 v40, v41, v40
	v_mov_b32_e32 v41, v159
	v_fmac_f32_e32 v41, 0x3e3c28d5, v113
	v_mul_f32_e32 v160, 0xbf4c4adb, v78
	v_add_f32_e32 v40, v41, v40
	v_mov_b32_e32 v41, v160
	v_mul_f32_e32 v161, 0x3f763a35, v80
	v_fmac_f32_e32 v41, 0xbf1a4643, v47
	v_mov_b32_e32 v42, v161
	v_add_f32_e32 v41, v41, v4
	v_fmac_f32_e32 v42, 0xbe8c1d8e, v49
	v_mul_f32_e32 v162, 0xbeb8f4ab, v82
	v_add_f32_e32 v41, v42, v41
	v_mov_b32_e32 v42, v162
	v_fmac_f32_e32 v42, 0x3f6eb680, v51
	v_mul_f32_e32 v163, 0xbf06c442, v84
	v_add_f32_e32 v41, v42, v41
	v_mov_b32_e32 v42, v163
	v_fmac_f32_e32 v42, 0xbf59a7d5, v54
	v_mul_f32_e32 v164, 0x3f7ee86f, v94
	v_add_f32_e32 v41, v42, v41
	v_mov_b32_e32 v42, v164
	v_fmac_f32_e32 v42, 0x3dbcf732, v57
	v_mul_f32_e32 v165, 0xbf2c7751, v100
	v_add_f32_e32 v41, v42, v41
	v_mov_b32_e32 v42, v165
	v_fmac_f32_e32 v42, 0x3f3d2fb0, v60
	v_mul_f32_e32 v166, 0xbe3c28d5, v109
	v_add_f32_e32 v41, v42, v41
	v_mov_b32_e32 v42, v166
	v_fmac_f32_e32 v42, 0xbf7ba420, v63
	v_mul_f32_e32 v167, 0x3ee437d1, v73
	v_add_f32_e32 v42, v42, v41
	v_mov_b32_e32 v41, v167
	v_fmac_f32_e32 v41, 0xbf65296c, v114
	v_mul_f32_e32 v168, 0x3f65296c, v112
	v_add_f32_e32 v41, v41, v40
	v_mov_b32_e32 v40, v168
	v_fmac_f32_e32 v40, 0x3ee437d1, v67
	v_mul_f32_e32 v135, 0xbf59a7d5, v48
	v_add_f32_e32 v40, v40, v42
	;; [unrolled: 64-line block ×3, first 2 shown]
	v_mov_b32_e32 v131, v133
	v_mul_f32_e32 v134, 0x3f6eb680, v50
	v_fmac_f32_e32 v131, 0x3e3c28d5, v81
	v_mov_b32_e32 v132, v134
	v_add_f32_e32 v131, v131, v5
	v_fmac_f32_e32 v132, 0xbeb8f4ab, v83
	v_mul_f32_e32 v183, 0xbf59a7d5, v52
	v_fmac_f32_e32 v139, 0xbf763a35, v81
	v_add_f32_e32 v131, v132, v131
	v_mov_b32_e32 v132, v183
	v_add_f32_e32 v139, v139, v5
	v_fmac_f32_e32 v140, 0x3f06c442, v83
	v_fmac_f32_e32 v132, 0x3f06c442, v85
	v_mul_f32_e32 v184, 0x3f3d2fb0, v55
	v_add_f32_e32 v139, v140, v139
	v_fmac_f32_e32 v141, 0x3f2c7751, v85
	v_fma_f32 v140, v47, s16, -v146
	v_add_f32_e32 v131, v132, v131
	v_mov_b32_e32 v132, v184
	v_add_f32_e32 v139, v141, v139
	v_add_f32_e32 v140, v140, v4
	v_fma_f32 v141, v49, s17, -v147
	v_fmac_f32_e32 v132, 0xbf2c7751, v96
	v_mul_f32_e32 v185, 0xbf1a4643, v59
	v_fmac_f32_e32 v142, 0xbf65296c, v96
	v_add_f32_e32 v140, v141, v140
	v_fma_f32 v141, v51, s7, -v148
	v_add_f32_e32 v131, v132, v131
	v_mov_b32_e32 v132, v185
	v_add_f32_e32 v139, v142, v139
	v_fmac_f32_e32 v143, 0xbe3c28d5, v103
	v_add_f32_e32 v140, v141, v140
	v_fma_f32 v141, v54, s8, -v149
	v_fmac_f32_e32 v132, 0x3f4c4adb, v103
	v_mul_f32_e32 v186, 0x3ee437d1, v64
	v_add_f32_e32 v139, v143, v139
	v_fmac_f32_e32 v144, 0x3f7ee86f, v111
	v_add_f32_e32 v140, v141, v140
	v_fma_f32 v141, v57, s11, -v150
	v_add_f32_e32 v131, v132, v131
	v_mov_b32_e32 v132, v186
	v_add_f32_e32 v139, v144, v139
	v_fmac_f32_e32 v145, 0xbeb8f4ab, v113
	v_add_f32_e32 v140, v141, v140
	v_fma_f32 v141, v60, s10, -v151
	v_fmac_f32_e32 v132, 0xbf65296c, v111
	v_mul_f32_e32 v187, 0xbe8c1d8e, v68
	v_add_f32_e32 v139, v145, v139
	v_add_f32_e32 v140, v141, v140
	v_fma_f32 v141, v63, s6, -v152
	v_fmac_f32_e32 v153, 0xbf4c4adb, v114
	v_add_f32_e32 v131, v132, v131
	v_mov_b32_e32 v132, v187
	v_add_f32_e32 v141, v141, v140
	v_add_f32_e32 v140, v153, v139
	v_fma_f32 v139, v67, s9, -v154
	v_fmac_f32_e32 v132, 0x3f763a35, v113
	v_mul_f32_e32 v188, 0xbe3c28d5, v78
	v_add_f32_e32 v139, v139, v141
	v_mul_f32_e32 v141, 0xbf7ee86f, v81
	v_add_f32_e32 v131, v132, v131
	v_mov_b32_e32 v132, v188
	v_mul_f32_e32 v189, 0x3eb8f4ab, v80
	v_fmac_f32_e32 v133, 0xbe3c28d5, v81
	v_fmac_f32_e32 v135, 0xbf06c442, v81
	;; [unrolled: 1-line block ×3, first 2 shown]
	v_mov_b32_e32 v81, v141
	v_mul_f32_e32 v142, 0xbe3c28d5, v83
	v_fmac_f32_e32 v132, 0xbf7ba420, v47
	v_mov_b32_e32 v190, v189
	v_fmac_f32_e32 v134, 0x3eb8f4ab, v83
	v_fmac_f32_e32 v136, 0x3f65296c, v83
	;; [unrolled: 1-line block ×4, first 2 shown]
	v_mov_b32_e32 v83, v142
	v_add_f32_e32 v132, v132, v4
	v_fmac_f32_e32 v190, 0x3f6eb680, v49
	v_add_f32_e32 v81, v81, v5
	v_fmac_f32_e32 v83, 0xbf7ba420, v50
	v_mul_f32_e32 v143, 0x3f763a35, v85
	v_add_f32_e32 v132, v190, v132
	v_mul_f32_e32 v190, 0xbf06c442, v82
	v_add_f32_e32 v81, v83, v81
	v_mov_b32_e32 v83, v143
	v_mov_b32_e32 v191, v190
	v_fmac_f32_e32 v184, 0x3f2c7751, v96
	v_fmac_f32_e32 v170, 0x3f4c4adb, v96
	;; [unrolled: 1-line block ×4, first 2 shown]
	v_mul_f32_e32 v96, 0x3eb8f4ab, v96
	v_fmac_f32_e32 v191, 0xbf59a7d5, v51
	v_add_f32_e32 v81, v83, v81
	v_mov_b32_e32 v83, v96
	v_add_f32_e32 v132, v191, v132
	v_mul_f32_e32 v191, 0x3f2c7751, v84
	v_fmac_f32_e32 v185, 0xbf4c4adb, v103
	v_fmac_f32_e32 v171, 0xbeb8f4ab, v103
	;; [unrolled: 1-line block ×4, first 2 shown]
	v_mul_f32_e32 v103, 0xbf65296c, v103
	v_mov_b32_e32 v192, v191
	v_add_f32_e32 v81, v83, v81
	v_mov_b32_e32 v83, v103
	v_fmac_f32_e32 v192, 0x3f3d2fb0, v54
	v_fmac_f32_e32 v186, 0x3f65296c, v111
	;; [unrolled: 1-line block ×5, first 2 shown]
	v_mul_f32_e32 v111, 0xbf06c442, v111
	v_add_f32_e32 v132, v192, v132
	v_mul_f32_e32 v192, 0xbf4c4adb, v94
	v_add_f32_e32 v81, v83, v81
	v_mov_b32_e32 v83, v111
	v_mov_b32_e32 v193, v192
	v_fmac_f32_e32 v187, 0xbf763a35, v113
	v_fmac_f32_e32 v173, 0x3f2c7751, v113
	;; [unrolled: 1-line block ×4, first 2 shown]
	v_mul_f32_e32 v113, 0x3f4c4adb, v113
	v_fmac_f32_e32 v193, 0xbf1a4643, v57
	v_add_f32_e32 v81, v83, v81
	v_mov_b32_e32 v83, v113
	v_add_f32_e32 v132, v193, v132
	v_mul_f32_e32 v193, 0x3f65296c, v100
	v_fmac_f32_e32 v83, 0xbf1a4643, v68
	v_mul_f32_e32 v78, 0xbf7ee86f, v78
	v_mov_b32_e32 v194, v193
	v_add_f32_e32 v81, v83, v81
	v_fma_f32 v83, v47, s10, -v78
	v_mul_f32_e32 v144, 0xbe3c28d5, v80
	v_fmac_f32_e32 v194, 0x3ee437d1, v60
	v_add_f32_e32 v83, v83, v4
	v_fma_f32 v80, v49, s11, -v144
	v_mul_f32_e32 v145, 0x3f763a35, v82
	v_add_f32_e32 v132, v194, v132
	v_mul_f32_e32 v194, 0xbf763a35, v109
	v_add_f32_e32 v80, v80, v83
	v_fma_f32 v82, v51, s16, -v145
	v_mul_f32_e32 v146, 0x3eb8f4ab, v84
	v_mov_b32_e32 v195, v194
	v_add_f32_e32 v80, v82, v80
	v_fma_f32 v82, v54, s6, -v146
	v_mul_f32_e32 v94, 0xbf65296c, v94
	v_fmac_f32_e32 v195, 0xbe8c1d8e, v63
	v_mul_f32_e32 v196, 0x3dbcf732, v73
	v_add_f32_e32 v80, v82, v80
	v_fma_f32 v82, v57, s8, -v94
	v_mul_f32_e32 v100, 0xbf06c442, v100
	v_add_f32_e32 v195, v195, v132
	v_mov_b32_e32 v132, v196
	v_add_f32_e32 v80, v82, v80
	v_fma_f32 v82, v60, s17, -v100
	v_mul_f32_e32 v109, 0x3f4c4adb, v109
	v_fmac_f32_e32 v132, 0xbf7ee86f, v114
	v_fmac_f32_e32 v196, 0x3f7ee86f, v114
	;; [unrolled: 1-line block ×4, first 2 shown]
	v_add_f32_e32 v80, v82, v80
	v_fma_f32 v82, v63, s9, -v109
	v_mul_f32_e32 v114, 0x3f2c7751, v114
	v_add_f32_e32 v80, v82, v80
	v_mov_b32_e32 v82, v114
	v_mul_f32_e32 v197, 0x3f7ee86f, v112
	v_fmac_f32_e32 v82, 0x3f3d2fb0, v73
	v_mul_f32_e32 v112, 0x3f2c7751, v112
	v_add_f32_e32 v81, v82, v81
	v_fma_f32 v82, v67, s7, -v112
	v_add_f32_e32 v80, v82, v80
	v_mul_f32_e32 v82, 0x3ee437d1, v48
	v_mul_f32_e32 v84, 0x3ee437d1, v47
	v_fmac_f32_e32 v183, 0xbf06c442, v85
	v_fmac_f32_e32 v169, 0xbf7ee86f, v85
	;; [unrolled: 1-line block ×3, first 2 shown]
	v_add_f32_e32 v82, v129, v82
	v_mul_f32_e32 v83, 0xbf1a4643, v50
	v_sub_f32_e32 v84, v84, v115
	v_mul_f32_e32 v85, 0xbf1a4643, v49
	v_add_f32_e32 v83, v130, v83
	v_add_f32_e32 v82, v82, v5
	v_sub_f32_e32 v85, v85, v116
	v_add_f32_e32 v84, v84, v4
	v_add_f32_e32 v82, v83, v82
	v_mul_f32_e32 v83, 0xbf7ba420, v52
	v_add_f32_e32 v84, v85, v84
	v_mul_f32_e32 v85, 0xbf7ba420, v51
	v_add_f32_e32 v83, v123, v83
	v_sub_f32_e32 v85, v85, v117
	v_add_f32_e32 v82, v83, v82
	v_mul_f32_e32 v83, 0xbe8c1d8e, v55
	v_add_f32_e32 v84, v85, v84
	v_mul_f32_e32 v85, 0xbe8c1d8e, v54
	v_add_f32_e32 v83, v124, v83
	v_sub_f32_e32 v85, v85, v118
	;; [unrolled: 6-line block ×6, first 2 shown]
	v_add_f32_e32 v83, v83, v82
	v_add_f32_e32 v82, v85, v84
	v_mul_f32_e32 v84, 0x3f3d2fb0, v48
	v_add_f32_e32 v84, v101, v84
	v_mul_f32_e32 v101, 0x3f3d2fb0, v47
	v_mul_f32_e32 v85, 0x3dbcf732, v50
	v_sub_f32_e32 v86, v101, v86
	v_mul_f32_e32 v101, 0x3dbcf732, v49
	v_add_f32_e32 v85, v102, v85
	v_add_f32_e32 v84, v84, v5
	v_sub_f32_e32 v87, v101, v87
	v_add_f32_e32 v86, v86, v4
	v_add_f32_e32 v84, v85, v84
	v_mul_f32_e32 v85, 0xbf1a4643, v52
	v_add_f32_e32 v86, v87, v86
	v_mul_f32_e32 v87, 0xbf1a4643, v51
	v_add_f32_e32 v85, v104, v85
	v_sub_f32_e32 v87, v87, v88
	v_add_f32_e32 v84, v85, v84
	v_mul_f32_e32 v85, 0xbf7ba420, v55
	v_add_f32_e32 v86, v87, v86
	v_mul_f32_e32 v87, 0xbf7ba420, v54
	v_add_f32_e32 v85, v105, v85
	v_sub_f32_e32 v87, v87, v93
	;; [unrolled: 6-line block ×3, first 2 shown]
	v_add_f32_e32 v7, v7, v5
	v_add_f32_e32 v6, v6, v4
	v_add_f32_e32 v84, v85, v84
	v_mul_f32_e32 v85, 0xbe8c1d8e, v64
	v_add_f32_e32 v86, v87, v86
	v_mul_f32_e32 v87, 0xbe8c1d8e, v60
	v_add_f32_e32 v7, v9, v7
	v_add_f32_e32 v6, v8, v6
	;; [unrolled: 1-line block ×3, first 2 shown]
	v_sub_f32_e32 v87, v87, v97
	v_add_f32_e32 v7, v11, v7
	v_add_f32_e32 v6, v10, v6
	;; [unrolled: 1-line block ×3, first 2 shown]
	v_mul_f32_e32 v85, 0x3ee437d1, v68
	v_add_f32_e32 v86, v87, v86
	v_mul_f32_e32 v87, 0x3ee437d1, v63
	v_add_f32_e32 v7, v17, v7
	v_add_f32_e32 v6, v16, v6
	;; [unrolled: 1-line block ×3, first 2 shown]
	v_sub_f32_e32 v87, v87, v98
	v_add_f32_e32 v7, v19, v7
	v_add_f32_e32 v6, v18, v6
	;; [unrolled: 1-line block ×3, first 2 shown]
	v_mul_f32_e32 v85, 0x3f6eb680, v73
	v_mul_f32_e32 v93, 0x3f6eb680, v48
	v_add_f32_e32 v86, v87, v86
	v_mul_f32_e32 v87, 0x3f6eb680, v67
	v_add_f32_e32 v7, v21, v7
	v_add_f32_e32 v6, v20, v6
	;; [unrolled: 1-line block ×3, first 2 shown]
	v_mul_f32_e32 v88, 0x3f6eb680, v47
	v_sub_f32_e32 v87, v87, v99
	v_add_f32_e32 v58, v58, v93
	v_add_f32_e32 v7, v23, v7
	;; [unrolled: 1-line block ×3, first 2 shown]
	v_fma_f32 v8, v48, s10, -v141
	v_add_f32_e32 v133, v133, v5
	v_add_f32_e32 v135, v135, v5
	v_add_f32_e32 v137, v137, v5
	v_mul_f32_e32 v95, 0x3f3d2fb0, v49
	v_add_f32_e32 v85, v85, v84
	v_add_f32_e32 v84, v87, v86
	v_mul_f32_e32 v86, 0x3f3d2fb0, v50
	v_add_f32_e32 v58, v58, v5
	v_sub_f32_e32 v53, v88, v53
	v_add_f32_e32 v7, v25, v7
	v_add_f32_e32 v6, v24, v6
	;; [unrolled: 1-line block ×3, first 2 shown]
	v_fma_f32 v8, v50, s11, -v142
	v_add_f32_e32 v133, v134, v133
	v_fma_f32 v134, v47, s11, -v188
	v_add_f32_e32 v135, v136, v135
	;; [unrolled: 2-line block ×3, first 2 shown]
	v_fma_f32 v138, v47, s9, -v160
	v_mul_f32_e32 v87, 0x3ee437d1, v51
	v_mul_f32_e32 v93, 0x3ee437d1, v52
	v_add_f32_e32 v62, v62, v86
	v_add_f32_e32 v53, v53, v4
	v_sub_f32_e32 v56, v95, v56
	v_add_f32_e32 v7, v27, v7
	v_add_f32_e32 v6, v26, v6
	;; [unrolled: 1-line block ×3, first 2 shown]
	v_fma_f32 v8, v52, s16, -v143
	v_fmac_f32_e32 v78, 0x3dbcf732, v47
	v_add_f32_e32 v133, v183, v133
	v_add_f32_e32 v134, v134, v4
	v_fma_f32 v183, v49, s6, -v189
	v_add_f32_e32 v135, v169, v135
	v_add_f32_e32 v136, v136, v4
	v_fma_f32 v169, v49, s8, -v175
	;; [unrolled: 3-line block ×3, first 2 shown]
	v_mul_f32_e32 v86, 0x3dbcf732, v54
	v_add_f32_e32 v58, v62, v58
	v_mul_f32_e32 v62, 0x3dbcf732, v55
	v_add_f32_e32 v66, v66, v93
	v_add_f32_e32 v53, v56, v53
	v_sub_f32_e32 v56, v87, v61
	v_add_f32_e32 v7, v29, v7
	v_add_f32_e32 v6, v28, v6
	;; [unrolled: 1-line block ×3, first 2 shown]
	v_fma_f32 v8, v55, s6, -v96
	v_add_f32_e32 v4, v78, v4
	v_fmac_f32_e32 v144, 0xbf7ba420, v49
	v_add_f32_e32 v134, v183, v134
	v_fma_f32 v183, v51, s17, -v190
	v_add_f32_e32 v136, v169, v136
	v_fma_f32 v169, v51, s10, -v176
	;; [unrolled: 2-line block ×3, first 2 shown]
	v_mul_f32_e32 v93, 0xbe8c1d8e, v57
	v_add_f32_e32 v58, v66, v58
	v_mul_f32_e32 v66, 0xbe8c1d8e, v59
	v_add_f32_e32 v62, v69, v62
	v_add_f32_e32 v53, v56, v53
	v_sub_f32_e32 v56, v86, v65
	v_add_f32_e32 v7, v31, v7
	v_add_f32_e32 v6, v30, v6
	v_add_f32_e32 v5, v8, v5
	v_fma_f32 v8, v59, s8, -v103
	v_add_f32_e32 v4, v144, v4
	v_fmac_f32_e32 v145, 0xbe8c1d8e, v51
	v_add_f32_e32 v133, v184, v133
	v_add_f32_e32 v134, v183, v134
	v_fma_f32 v183, v54, s7, -v191
	v_add_f32_e32 v135, v170, v135
	v_add_f32_e32 v136, v169, v136
	v_fma_f32 v169, v54, s9, -v177
	v_add_f32_e32 v137, v156, v137
	v_add_f32_e32 v138, v155, v138
	v_fma_f32 v155, v54, s17, -v163
	v_mul_f32_e32 v69, 0xbf1a4643, v60
	v_add_f32_e32 v58, v62, v58
	v_mul_f32_e32 v62, 0xbf1a4643, v64
	v_add_f32_e32 v66, v71, v66
	v_add_f32_e32 v53, v56, v53
	v_sub_f32_e32 v56, v93, v70
	v_add_f32_e32 v7, v13, v7
	v_add_f32_e32 v6, v12, v6
	v_add_f32_e32 v5, v8, v5
	v_fma_f32 v8, v64, s17, -v111
	v_add_f32_e32 v4, v145, v4
	v_fmac_f32_e32 v146, 0x3f6eb680, v54
	v_add_f32_e32 v133, v185, v133
	v_add_f32_e32 v134, v183, v134
	v_fma_f32 v183, v57, s9, -v192
	v_add_f32_e32 v135, v171, v135
	v_add_f32_e32 v136, v169, v136
	v_fma_f32 v169, v57, s6, -v178
	v_add_f32_e32 v137, v157, v137
	v_add_f32_e32 v138, v155, v138
	v_fma_f32 v155, v57, s10, -v164
	;; [unrolled: 21-line block ×3, first 2 shown]
	v_mul_f32_e32 v74, 0xbf7ba420, v67
	v_add_f32_e32 v58, v62, v58
	v_mul_f32_e32 v62, 0xbf7ba420, v73
	v_add_f32_e32 v66, v76, v66
	v_add_f32_e32 v53, v56, v53
	v_sub_f32_e32 v56, v71, v75
	v_add_f32_e32 v7, v33, v7
	v_add_f32_e32 v6, v32, v6
	;; [unrolled: 1-line block ×3, first 2 shown]
	v_fma_f32 v8, v73, s7, -v114
	v_add_f32_e32 v4, v94, v4
	v_fmac_f32_e32 v100, 0xbf59a7d5, v60
	v_add_f32_e32 v132, v132, v131
	v_mov_b32_e32 v131, v197
	v_add_f32_e32 v133, v187, v133
	v_add_f32_e32 v134, v183, v134
	v_fma_f32 v183, v63, s16, -v194
	v_add_f32_e32 v135, v173, v135
	v_add_f32_e32 v136, v169, v136
	v_fma_f32 v169, v63, s7, -v180
	;; [unrolled: 3-line block ×3, first 2 shown]
	v_add_f32_e32 v58, v66, v58
	v_add_f32_e32 v62, v79, v62
	;; [unrolled: 1-line block ×3, first 2 shown]
	v_sub_f32_e32 v56, v74, v77
	v_add_f32_e32 v7, v35, v7
	v_add_f32_e32 v6, v34, v6
	;; [unrolled: 1-line block ×4, first 2 shown]
	v_fmac_f32_e32 v109, 0xbf1a4643, v63
	v_mul_lo_u16_e32 v8, 17, v89
	v_fmac_f32_e32 v131, 0x3dbcf732, v67
	v_add_f32_e32 v183, v183, v134
	v_add_f32_e32 v134, v196, v133
	v_fma_f32 v133, v67, s10, -v197
	v_add_f32_e32 v169, v169, v136
	v_add_f32_e32 v136, v181, v135
	v_fma_f32 v135, v67, s16, -v182
	;; [unrolled: 3-line block ×3, first 2 shown]
	v_add_f32_e32 v62, v62, v58
	v_add_f32_e32 v61, v56, v53
	;; [unrolled: 1-line block ×5, first 2 shown]
	v_fmac_f32_e32 v112, 0x3f3d2fb0, v67
	v_add_lshl_u32 v8, v91, v8, 3
	v_add_f32_e32 v131, v131, v195
	v_add_f32_e32 v133, v133, v183
	;; [unrolled: 1-line block ×5, first 2 shown]
	ds_write2_b64 v8, v[6:7], v[61:62] offset1:1
	ds_write2_b64 v8, v[84:85], v[82:83] offset0:2 offset1:3
	ds_write2_b64 v8, v[80:81], v[139:140] offset0:4 offset1:5
	;; [unrolled: 1-line block ×7, first 2 shown]
	ds_write_b64 v8, v[45:46] offset:128
.LBB0_7:
	s_or_b64 exec, exec, s[4:5]
	s_load_dwordx4 s[4:7], s[0:1], 0x0
	s_movk_i32 s0, 0xffef
	v_add_co_u32_e64 v4, s[0:1], s0, v89
	v_addc_co_u32_e64 v5, s[0:1], 0, -1, s[0:1]
	v_cmp_gt_u16_e64 s[0:1], 17, v89
	v_cndmask_b32_e64 v34, v5, 0, s[0:1]
	v_cndmask_b32_e64 v33, v4, v89, s[0:1]
	v_lshlrev_b64 v[4:5], 3, v[33:34]
	v_mov_b32_e32 v6, s3
	v_add_co_u32_e64 v4, s[0:1], s2, v4
	v_addc_co_u32_e64 v5, s[0:1], v6, v5, s[0:1]
	s_movk_i32 s0, 0xf1
	v_add_u16_e32 v8, 0x44, v89
	v_mul_lo_u16_sdwa v9, v8, s0 dst_sel:DWORD dst_unused:UNUSED_PAD src0_sel:BYTE_0 src1_sel:DWORD
	v_lshrrev_b16_e32 v36, 12, v9
	v_mul_lo_u16_e32 v9, 17, v36
	v_add_u16_e32 v6, 34, v89
	v_sub_u16_e32 v37, v8, v9
	v_add_u16_e32 v9, 0x66, v89
	v_mul_lo_u16_sdwa v7, v6, s0 dst_sel:DWORD dst_unused:UNUSED_PAD src0_sel:BYTE_0 src1_sel:DWORD
	v_mul_lo_u16_sdwa v10, v9, s0 dst_sel:DWORD dst_unused:UNUSED_PAD src0_sel:BYTE_0 src1_sel:DWORD
	v_lshrrev_b16_e32 v34, 12, v7
	v_lshrrev_b16_e32 v38, 12, v10
	v_mul_lo_u16_e32 v7, 17, v34
	v_mul_lo_u16_e32 v10, 17, v38
	v_sub_u16_e32 v35, v6, v7
	v_mov_b32_e32 v6, 3
	v_sub_u16_e32 v39, v9, v10
	s_waitcnt lgkmcnt(0)
	s_barrier
	v_lshlrev_b32_sdwa v7, v6, v35 dst_sel:DWORD dst_unused:UNUSED_PAD src0_sel:DWORD src1_sel:BYTE_0
	v_lshlrev_b32_sdwa v8, v6, v37 dst_sel:DWORD dst_unused:UNUSED_PAD src0_sel:DWORD src1_sel:BYTE_0
	;; [unrolled: 1-line block ×3, first 2 shown]
	global_load_dwordx2 v[53:54], v[4:5], off
	global_load_dwordx2 v[51:52], v7, s[2:3]
	global_load_dwordx2 v[49:50], v8, s[2:3]
	;; [unrolled: 1-line block ×3, first 2 shown]
	v_add_u16_e32 v4, 0x88, v89
	v_mul_lo_u16_sdwa v5, v4, s0 dst_sel:DWORD dst_unused:UNUSED_PAD src0_sel:BYTE_0 src1_sel:DWORD
	v_lshrrev_b16_e32 v40, 12, v5
	v_mul_lo_u16_e32 v5, 17, v40
	v_sub_u16_e32 v41, v4, v5
	v_add_u16_e32 v5, 0xaa, v89
	v_mul_lo_u16_sdwa v7, v5, s0 dst_sel:DWORD dst_unused:UNUSED_PAD src0_sel:BYTE_0 src1_sel:DWORD
	v_lshrrev_b16_e32 v42, 12, v7
	v_mul_lo_u16_e32 v7, 17, v42
	v_sub_u16_e32 v43, v5, v7
	v_lshlrev_b32_sdwa v4, v6, v41 dst_sel:DWORD dst_unused:UNUSED_PAD src0_sel:DWORD src1_sel:BYTE_0
	v_lshlrev_b32_sdwa v5, v6, v43 dst_sel:DWORD dst_unused:UNUSED_PAD src0_sel:DWORD src1_sel:BYTE_0
	global_load_dwordx2 v[55:56], v4, s[2:3]
	global_load_dwordx2 v[59:60], v5, s[2:3]
	v_add_u16_e32 v4, 0xcc, v89
	v_mul_lo_u16_sdwa v7, v4, s0 dst_sel:DWORD dst_unused:UNUSED_PAD src0_sel:BYTE_0 src1_sel:DWORD
	v_lshrrev_b16_e32 v61, 12, v7
	v_mul_lo_u16_e32 v5, 17, v61
	v_sub_u16_e32 v62, v4, v5
	v_lshlrev_b32_sdwa v4, v6, v62 dst_sel:DWORD dst_unused:UNUSED_PAD src0_sel:DWORD src1_sel:BYTE_0
	global_load_dwordx2 v[57:58], v4, s[2:3]
	v_add_lshl_u32 v93, v91, v89, 3
	ds_read2_b64 v[4:7], v93 offset1:34
	ds_read2_b64 v[8:11], v93 offset0:204 offset1:238
	v_add_u32_e32 v16, 0x800, v93
	ds_read2_b64 v[12:15], v93 offset0:68 offset1:102
	ds_read2_b64 v[17:20], v93 offset0:136 offset1:170
	;; [unrolled: 1-line block ×5, first 2 shown]
	v_cmp_lt_u16_e64 s[0:1], 16, v89
	s_waitcnt vmcnt(0) lgkmcnt(0)
	s_barrier
	v_lshl_add_u32 v102, v89, 3, v92
	v_lshlrev_b32_e32 v94, 3, v89
	v_mul_f32_e32 v64, v10, v54
	v_mul_f32_e32 v63, v11, v54
	v_fmac_f32_e32 v64, v11, v53
	v_mul_f32_e32 v65, v22, v52
	v_mul_f32_e32 v67, v24, v50
	v_fma_f32 v10, v10, v53, -v63
	v_mul_f32_e32 v66, v21, v52
	v_mul_f32_e32 v68, v23, v50
	v_fma_f32 v21, v21, v51, -v65
	v_fma_f32 v23, v23, v49, -v67
	v_sub_f32_e32 v10, v4, v10
	v_fma_f32 v4, v4, 2.0, -v10
	v_mul_f32_e32 v69, v26, v48
	v_mul_f32_e32 v70, v25, v48
	v_fma_f32 v25, v25, v47, -v69
	v_fmac_f32_e32 v66, v22, v51
	v_mul_f32_e32 v11, v28, v56
	v_fma_f32 v63, v27, v55, -v11
	v_mul_f32_e32 v11, v30, v60
	v_mul_f32_e32 v65, v27, v56
	v_fma_f32 v67, v29, v59, -v11
	v_sub_f32_e32 v27, v17, v63
	v_cndmask_b32_e64 v63, 0, 34, s[0:1]
	v_add_u32_e32 v33, v33, v63
	v_mul_f32_e32 v11, v32, v58
	v_fma_f32 v71, v31, v57, -v11
	v_sub_f32_e32 v11, v5, v64
	v_fma_f32 v5, v5, 2.0, -v11
	v_add_lshl_u32 v95, v91, v33, 3
	ds_write2_b64 v95, v[4:5], v[10:11] offset1:17
	v_mad_legacy_u16 v4, v34, 34, v35
	v_and_b32_e32 v4, 0xff, v4
	v_add_lshl_u32 v96, v91, v4, 3
	v_mul_u32_u24_e32 v4, 34, v36
	v_add_u32_sdwa v4, v4, v37 dst_sel:DWORD dst_unused:UNUSED_PAD src0_sel:DWORD src1_sel:BYTE_0
	v_add_lshl_u32 v97, v91, v4, 3
	v_mul_u32_u24_e32 v4, 34, v38
	v_add_u32_sdwa v4, v4, v39 dst_sel:DWORD dst_unused:UNUSED_PAD src0_sel:DWORD src1_sel:BYTE_0
	;; [unrolled: 3-line block ×3, first 2 shown]
	v_add_lshl_u32 v99, v91, v4, 3
	v_mul_u32_u24_e32 v4, 34, v42
	v_mul_f32_e32 v69, v29, v60
	v_mul_f32_e32 v72, v31, v58
	v_add_u32_sdwa v4, v4, v43 dst_sel:DWORD dst_unused:UNUSED_PAD src0_sel:DWORD src1_sel:BYTE_0
	v_mad_u64_u32 v[41:42], s[0:1], v89, 48, s[2:3]
	v_fmac_f32_e32 v68, v24, v49
	v_fmac_f32_e32 v70, v26, v47
	;; [unrolled: 1-line block ×5, first 2 shown]
	v_add_lshl_u32 v100, v91, v4, 3
	v_mul_u32_u24_e32 v4, 34, v61
	v_sub_f32_e32 v21, v6, v21
	v_sub_f32_e32 v22, v7, v66
	;; [unrolled: 1-line block ×11, first 2 shown]
	v_add_u32_sdwa v4, v4, v62 dst_sel:DWORD dst_unused:UNUSED_PAD src0_sel:DWORD src1_sel:BYTE_0
	v_fma_f32 v6, v6, 2.0, -v21
	v_fma_f32 v7, v7, 2.0, -v22
	;; [unrolled: 1-line block ×12, first 2 shown]
	v_add_lshl_u32 v101, v91, v4, 3
	ds_write2_b64 v96, v[6:7], v[21:22] offset1:17
	ds_write2_b64 v97, v[12:13], v[23:24] offset1:17
	ds_write2_b64 v98, v[14:15], v[25:26] offset1:17
	ds_write2_b64 v99, v[17:18], v[27:28] offset1:17
	ds_write2_b64 v100, v[19:20], v[29:30] offset1:17
	ds_write2_b64 v101, v[8:9], v[31:32] offset1:17
	s_waitcnt lgkmcnt(0)
	s_barrier
	global_load_dwordx4 v[12:15], v[41:42], off offset:136
	global_load_dwordx4 v[8:11], v[41:42], off offset:152
	;; [unrolled: 1-line block ×3, first 2 shown]
	ds_read2_b64 v[17:20], v93 offset1:34
	ds_read2_b64 v[21:24], v93 offset0:68 offset1:102
	ds_read2_b64 v[25:28], v93 offset0:136 offset1:170
	;; [unrolled: 1-line block ×6, first 2 shown]
	s_mov_b32 s0, 0x3f5ff5aa
	s_mov_b32 s1, 0x3f3bfb3b
	;; [unrolled: 1-line block ×4, first 2 shown]
	s_waitcnt vmcnt(0) lgkmcnt(0)
	s_barrier
	v_mul_f32_e32 v43, v22, v13
	v_fma_f32 v43, v21, v12, -v43
	v_mul_f32_e32 v21, v21, v13
	v_fmac_f32_e32 v21, v22, v12
	v_mul_f32_e32 v22, v26, v15
	v_fma_f32 v22, v25, v14, -v22
	v_mul_f32_e32 v25, v25, v15
	v_fmac_f32_e32 v25, v26, v14
	;; [unrolled: 4-line block ×6, first 2 shown]
	v_mul_f32_e32 v62, v24, v13
	v_fma_f32 v62, v23, v12, -v62
	v_mul_f32_e32 v65, v23, v13
	v_mul_f32_e32 v23, v28, v15
	v_fma_f32 v66, v27, v14, -v23
	v_mul_f32_e32 v23, v32, v9
	v_fma_f32 v68, v31, v8, -v23
	;; [unrolled: 2-line block ×3, first 2 shown]
	v_mul_f32_e32 v35, v35, v11
	v_mul_f32_e32 v23, v40, v5
	v_mul_f32_e32 v67, v27, v15
	v_fmac_f32_e32 v35, v36, v10
	v_fma_f32 v36, v39, v4, -v23
	v_mul_f32_e32 v39, v39, v5
	v_mul_f32_e32 v23, v64, v7
	v_fmac_f32_e32 v67, v28, v14
	v_mul_f32_e32 v69, v31, v9
	v_fmac_f32_e32 v39, v40, v4
	v_fma_f32 v40, v63, v6, -v23
	v_add_f32_e32 v23, v43, v38
	v_add_f32_e32 v28, v22, v34
	v_fmac_f32_e32 v65, v24, v12
	v_fmac_f32_e32 v69, v32, v8
	v_add_f32_e32 v24, v21, v61
	v_add_f32_e32 v31, v25, v37
	;; [unrolled: 1-line block ×3, first 2 shown]
	v_sub_f32_e32 v26, v30, v26
	v_add_f32_e32 v30, v28, v23
	v_sub_f32_e32 v22, v22, v34
	v_add_f32_e32 v34, v29, v33
	;; [unrolled: 2-line block ×3, first 2 shown]
	v_add_f32_e32 v30, v32, v30
	v_mul_f32_e32 v63, v63, v7
	v_sub_f32_e32 v25, v25, v37
	v_sub_f32_e32 v37, v28, v23
	;; [unrolled: 1-line block ×4, first 2 shown]
	v_add_f32_e32 v32, v34, v33
	v_add_f32_e32 v17, v17, v30
	v_fmac_f32_e32 v63, v64, v6
	v_sub_f32_e32 v27, v43, v38
	v_sub_f32_e32 v21, v21, v61
	;; [unrolled: 1-line block ×5, first 2 shown]
	v_add_f32_e32 v43, v26, v22
	v_add_f32_e32 v61, v29, v25
	v_sub_f32_e32 v64, v26, v22
	v_sub_f32_e32 v71, v29, v25
	v_add_f32_e32 v18, v18, v32
	v_mov_b32_e32 v72, v17
	v_sub_f32_e32 v26, v27, v26
	v_sub_f32_e32 v29, v21, v29
	v_sub_f32_e32 v22, v22, v27
	v_sub_f32_e32 v25, v25, v21
	v_add_f32_e32 v27, v43, v27
	v_add_f32_e32 v21, v61, v21
	v_mul_f32_e32 v23, 0x3f4a47b2, v23
	v_mul_f32_e32 v24, 0x3f4a47b2, v24
	;; [unrolled: 1-line block ×6, first 2 shown]
	v_fmac_f32_e32 v72, 0xbf955555, v30
	v_mov_b32_e32 v30, v18
	v_mul_f32_e32 v64, 0x3f5ff5aa, v22
	v_mul_f32_e32 v71, 0x3f5ff5aa, v25
	v_fmac_f32_e32 v30, 0xbf955555, v32
	v_fma_f32 v32, v37, s1, -v33
	v_fma_f32 v33, v38, s1, -v34
	;; [unrolled: 1-line block ×3, first 2 shown]
	v_fmac_f32_e32 v23, 0x3d64c772, v28
	v_fma_f32 v28, v38, s2, -v24
	v_fmac_f32_e32 v24, 0x3d64c772, v31
	v_fma_f32 v31, v22, s0, -v43
	v_fma_f32 v37, v25, s0, -v61
	v_fmac_f32_e32 v43, 0x3eae86e6, v26
	v_fmac_f32_e32 v61, 0x3eae86e6, v29
	v_fma_f32 v38, v26, s3, -v64
	v_fma_f32 v29, v29, s3, -v71
	v_add_f32_e32 v32, v32, v72
	v_add_f32_e32 v33, v33, v30
	v_fmac_f32_e32 v31, 0x3ee1c552, v27
	v_fmac_f32_e32 v37, 0x3ee1c552, v21
	v_add_f32_e32 v64, v23, v72
	v_add_f32_e32 v71, v24, v30
	;; [unrolled: 1-line block ×4, first 2 shown]
	v_fmac_f32_e32 v43, 0x3ee1c552, v27
	v_fmac_f32_e32 v61, 0x3ee1c552, v21
	;; [unrolled: 1-line block ×4, first 2 shown]
	v_sub_f32_e32 v25, v32, v37
	v_add_f32_e32 v26, v31, v33
	v_add_f32_e32 v27, v37, v32
	v_sub_f32_e32 v28, v33, v31
	v_add_f32_e32 v33, v62, v40
	v_sub_f32_e32 v37, v62, v40
	v_add_f32_e32 v40, v66, v36
	v_add_f32_e32 v21, v61, v64
	v_sub_f32_e32 v22, v71, v43
	v_add_f32_e32 v23, v29, v34
	v_sub_f32_e32 v29, v34, v29
	v_sub_f32_e32 v31, v64, v61
	v_add_f32_e32 v32, v43, v71
	v_add_f32_e32 v34, v65, v63
	;; [unrolled: 1-line block ×5, first 2 shown]
	v_sub_f32_e32 v24, v30, v38
	v_add_f32_e32 v30, v38, v30
	v_sub_f32_e32 v38, v65, v63
	v_sub_f32_e32 v36, v66, v36
	v_add_f32_e32 v62, v69, v35
	v_add_f32_e32 v65, v43, v34
	v_sub_f32_e32 v66, v40, v33
	v_sub_f32_e32 v33, v33, v61
	;; [unrolled: 1-line block ×3, first 2 shown]
	v_add_f32_e32 v61, v61, v64
	v_sub_f32_e32 v39, v67, v39
	v_sub_f32_e32 v63, v70, v68
	;; [unrolled: 1-line block ×6, first 2 shown]
	v_add_f32_e32 v62, v62, v65
	v_add_f32_e32 v19, v19, v61
	;; [unrolled: 1-line block ×4, first 2 shown]
	v_sub_f32_e32 v70, v63, v36
	v_sub_f32_e32 v71, v35, v39
	;; [unrolled: 1-line block ×4, first 2 shown]
	v_add_f32_e32 v20, v20, v62
	v_mov_b32_e32 v72, v19
	v_sub_f32_e32 v63, v37, v63
	v_sub_f32_e32 v35, v38, v35
	v_add_f32_e32 v37, v68, v37
	v_add_f32_e32 v38, v69, v38
	v_mul_f32_e32 v33, 0x3f4a47b2, v33
	v_mul_f32_e32 v34, 0x3f4a47b2, v34
	;; [unrolled: 1-line block ×8, first 2 shown]
	v_fmac_f32_e32 v72, 0xbf955555, v61
	v_mov_b32_e32 v61, v20
	v_fmac_f32_e32 v61, 0xbf955555, v62
	v_fma_f32 v62, v66, s1, -v64
	v_fma_f32 v64, v67, s1, -v65
	;; [unrolled: 1-line block ×3, first 2 shown]
	v_fmac_f32_e32 v33, 0x3d64c772, v40
	v_fma_f32 v40, v67, s2, -v34
	v_fmac_f32_e32 v34, 0x3d64c772, v43
	v_fma_f32 v43, v36, s0, -v68
	;; [unrolled: 2-line block ×4, first 2 shown]
	v_fma_f32 v66, v35, s3, -v71
	v_add_f32_e32 v67, v33, v72
	v_add_f32_e32 v70, v34, v61
	;; [unrolled: 1-line block ×6, first 2 shown]
	v_fmac_f32_e32 v68, 0x3ee1c552, v37
	v_fmac_f32_e32 v69, 0x3ee1c552, v38
	;; [unrolled: 1-line block ×6, first 2 shown]
	v_add_f32_e32 v33, v69, v67
	v_sub_f32_e32 v34, v70, v68
	v_add_f32_e32 v35, v66, v65
	v_sub_f32_e32 v36, v71, v63
	v_sub_f32_e32 v37, v62, v39
	v_add_f32_e32 v38, v43, v64
	v_add_f32_e32 v39, v39, v62
	v_sub_f32_e32 v40, v64, v43
	v_sub_f32_e32 v61, v65, v66
	v_add_f32_e32 v62, v63, v71
	v_sub_f32_e32 v63, v67, v69
	v_add_f32_e32 v64, v68, v70
	ds_write2_b64 v93, v[17:18], v[21:22] offset1:34
	ds_write2_b64 v93, v[23:24], v[25:26] offset0:68 offset1:102
	ds_write2_b64 v93, v[27:28], v[29:30] offset0:136 offset1:170
	;; [unrolled: 1-line block ×6, first 2 shown]
	v_mul_i32_i24_e32 v17, 0xffffffd8, v89
	v_mul_hi_i32_i24_e32 v18, 0xffffffd8, v89
	v_add_co_u32_e64 v17, s[0:1], v41, v17
	v_addc_co_u32_e64 v18, s[0:1], v42, v18, s[0:1]
	s_waitcnt lgkmcnt(0)
	s_barrier
	global_load_dwordx2 v[61:62], v[17:18], off offset:1768
	global_load_dwordx2 v[63:64], v[17:18], off offset:2040
	;; [unrolled: 1-line block ×7, first 2 shown]
	ds_read2_b64 v[22:25], v93 offset1:34
	ds_read2_b64 v[40:43], v93 offset0:204 offset1:238
	ds_read2_b64 v[17:20], v16 offset0:16 offset1:50
	;; [unrolled: 1-line block ×6, first 2 shown]
	s_waitcnt vmcnt(6) lgkmcnt(5)
	v_mul_f32_e32 v16, v43, v62
	s_waitcnt vmcnt(5) lgkmcnt(4)
	v_mul_f32_e32 v38, v18, v64
	v_fma_f32 v38, v17, v63, -v38
	v_mul_f32_e32 v39, v17, v64
	s_waitcnt vmcnt(4)
	v_mul_f32_e32 v17, v20, v66
	v_fma_f32 v16, v42, v61, -v16
	v_mul_f32_e32 v21, v42, v62
	v_fma_f32 v42, v19, v65, -v17
	s_waitcnt vmcnt(3) lgkmcnt(2)
	v_mul_f32_e32 v17, v27, v68
	v_fma_f32 v79, v26, v67, -v17
	s_waitcnt vmcnt(2)
	v_mul_f32_e32 v17, v29, v70
	v_fmac_f32_e32 v21, v43, v61
	v_fmac_f32_e32 v39, v18, v63
	v_mul_f32_e32 v43, v19, v66
	v_fma_f32 v81, v28, v69, -v17
	s_waitcnt vmcnt(1) lgkmcnt(0)
	v_mul_f32_e32 v17, v35, v72
	v_sub_f32_e32 v18, v22, v16
	v_fmac_f32_e32 v43, v20, v65
	v_mul_f32_e32 v80, v26, v68
	v_mul_f32_e32 v82, v28, v70
	v_fma_f32 v83, v34, v71, -v17
	v_mul_f32_e32 v84, v34, v72
	s_waitcnt vmcnt(0)
	v_mul_f32_e32 v17, v37, v74
	v_mul_f32_e32 v86, v36, v74
	v_sub_f32_e32 v19, v23, v21
	v_fma_f32 v16, v22, 2.0, -v18
	v_sub_f32_e32 v22, v24, v38
	v_sub_f32_e32 v26, v30, v42
	v_fmac_f32_e32 v80, v27, v67
	v_fmac_f32_e32 v82, v29, v69
	;; [unrolled: 1-line block ×3, first 2 shown]
	v_fma_f32 v85, v36, v73, -v17
	v_fmac_f32_e32 v86, v37, v73
	v_fma_f32 v17, v23, 2.0, -v19
	v_sub_f32_e32 v23, v25, v39
	v_fma_f32 v20, v24, 2.0, -v22
	v_sub_f32_e32 v27, v31, v43
	;; [unrolled: 2-line block ×3, first 2 shown]
	v_sub_f32_e32 v34, v75, v81
	v_fma_f32 v21, v25, 2.0, -v23
	v_fma_f32 v25, v31, 2.0, -v27
	v_sub_f32_e32 v31, v33, v80
	v_fma_f32 v28, v32, 2.0, -v30
	v_sub_f32_e32 v35, v76, v82
	v_fma_f32 v32, v75, 2.0, -v34
	v_sub_f32_e32 v38, v77, v83
	v_sub_f32_e32 v39, v78, v84
	v_sub_f32_e32 v42, v40, v85
	v_sub_f32_e32 v43, v41, v86
	v_add_u32_e32 v75, 0x400, v102
	v_fma_f32 v29, v33, 2.0, -v31
	v_fma_f32 v33, v76, 2.0, -v35
	;; [unrolled: 1-line block ×6, first 2 shown]
	ds_write2_b64 v75, v[18:19], v[22:23] offset0:110 offset1:144
	v_add_u32_e32 v75, v94, v92
	ds_write2_b64 v102, v[16:17], v[20:21] offset1:34
	ds_write_b64 v102, v[24:25] offset:544
	ds_write_b64 v75, v[26:27] offset:2448
	;; [unrolled: 1-line block ×10, first 2 shown]
	s_waitcnt lgkmcnt(0)
	s_barrier
	s_and_saveexec_b64 s[0:1], vcc
	s_cbranch_execz .LBB0_9
; %bb.8:
	global_load_dwordx2 v[119:120], v90, s[12:13] offset:3808
	s_add_u32 s2, s12, 0xee0
	s_addc_u32 s3, s13, 0
	global_load_dwordx2 v[121:122], v90, s[2:3] offset:224
	global_load_dwordx2 v[123:124], v90, s[2:3] offset:448
	;; [unrolled: 1-line block ×15, first 2 shown]
	ds_read2_b64 v[76:79], v102 offset1:28
	ds_read2_b64 v[80:83], v102 offset0:56 offset1:84
	ds_read2_b64 v[84:87], v102 offset0:112 offset1:140
	global_load_dwordx2 v[151:152], v90, s[2:3] offset:3584
	ds_read2_b64 v[103:106], v102 offset0:168 offset1:196
	ds_read2_b64 v[107:110], v102 offset0:224 offset1:252
	v_add_u32_e32 v155, 0x800, v102
	ds_read2_b64 v[111:114], v155 offset0:24 offset1:52
	ds_read2_b64 v[115:118], v155 offset0:80 offset1:108
	s_waitcnt vmcnt(13) lgkmcnt(5)
	v_mul_f32_e32 v156, v83, v126
	s_waitcnt vmcnt(12) lgkmcnt(4)
	v_mul_f32_e32 v157, v85, v128
	s_waitcnt vmcnt(11)
	v_mul_f32_e32 v158, v87, v130
	s_waitcnt vmcnt(10) lgkmcnt(3)
	v_mul_f32_e32 v159, v104, v132
	s_waitcnt vmcnt(9)
	;; [unrolled: 4-line block ×3, first 2 shown]
	v_mul_f32_e32 v162, v110, v138
	s_waitcnt vmcnt(6) lgkmcnt(1)
	v_mul_f32_e32 v163, v112, v140
	v_mul_f32_e32 v88, v77, v120
	;; [unrolled: 1-line block ×3, first 2 shown]
	v_fma_f32 v153, v76, v119, -v88
	v_fmac_f32_e32 v154, v77, v119
	v_mul_f32_e32 v76, v79, v122
	v_mul_f32_e32 v77, v78, v122
	;; [unrolled: 1-line block ×12, first 2 shown]
	s_waitcnt vmcnt(5)
	v_mul_f32_e32 v140, v114, v142
	v_mul_f32_e32 v136, v113, v142
	v_fma_f32 v76, v78, v121, -v76
	v_fmac_f32_e32 v77, v79, v121
	v_fma_f32 v119, v80, v123, -v119
	v_fmac_f32_e32 v120, v81, v123
	v_fma_f32 v121, v82, v125, -v156
	v_fmac_f32_e32 v122, v83, v125
	v_fma_f32 v123, v84, v127, -v157
	v_fmac_f32_e32 v124, v85, v127
	v_fma_f32 v125, v86, v129, -v158
	v_fmac_f32_e32 v126, v87, v129
	v_fma_f32 v87, v103, v131, -v159
	v_fmac_f32_e32 v88, v104, v131
	v_fma_f32 v127, v105, v133, -v160
	v_fmac_f32_e32 v128, v106, v133
	v_fma_f32 v129, v107, v135, -v161
	v_fmac_f32_e32 v130, v108, v135
	v_fma_f32 v131, v109, v137, -v162
	v_fmac_f32_e32 v132, v110, v137
	v_fma_f32 v133, v111, v139, -v163
	v_fmac_f32_e32 v134, v112, v139
	v_fma_f32 v135, v113, v141, -v140
	v_fmac_f32_e32 v136, v114, v141
	ds_write2_b64 v102, v[153:154], v[76:77] offset1:28
	ds_write2_b64 v102, v[119:120], v[121:122] offset0:56 offset1:84
	ds_write2_b64 v102, v[123:124], v[125:126] offset0:112 offset1:140
	;; [unrolled: 1-line block ×5, first 2 shown]
	ds_read2_b64 v[76:79], v155 offset0:136 offset1:164
	s_waitcnt vmcnt(4) lgkmcnt(7)
	v_mul_f32_e32 v142, v116, v144
	v_mul_f32_e32 v138, v115, v144
	s_waitcnt vmcnt(3)
	v_mul_f32_e32 v80, v118, v146
	v_mul_f32_e32 v81, v117, v146
	v_fma_f32 v137, v115, v143, -v142
	v_fmac_f32_e32 v138, v116, v143
	v_fma_f32 v80, v117, v145, -v80
	v_fmac_f32_e32 v81, v118, v145
	ds_write2_b64 v155, v[137:138], v[80:81] offset0:80 offset1:108
	s_waitcnt vmcnt(2) lgkmcnt(1)
	v_mul_f32_e32 v80, v77, v148
	v_mul_f32_e32 v81, v76, v148
	v_fma_f32 v80, v76, v147, -v80
	v_fmac_f32_e32 v81, v77, v147
	ds_read_b64 v[76:77], v102 offset:3584
	s_waitcnt vmcnt(1)
	v_mul_f32_e32 v82, v79, v150
	v_mul_f32_e32 v83, v78, v150
	v_fma_f32 v82, v78, v149, -v82
	v_fmac_f32_e32 v83, v79, v149
	s_waitcnt vmcnt(0) lgkmcnt(0)
	v_mul_f32_e32 v78, v77, v152
	v_mul_f32_e32 v79, v76, v152
	v_fma_f32 v78, v76, v151, -v78
	v_fmac_f32_e32 v79, v77, v151
	ds_write2_b64 v155, v[80:81], v[82:83] offset0:136 offset1:164
	ds_write_b64 v102, v[78:79] offset:3584
.LBB0_9:
	s_or_b64 exec, exec, s[0:1]
	s_waitcnt lgkmcnt(0)
	s_barrier
	s_and_saveexec_b64 s[0:1], vcc
	s_cbranch_execz .LBB0_11
; %bb.10:
	ds_read2_b64 v[16:19], v102 offset1:28
	ds_read2_b64 v[20:23], v102 offset0:56 offset1:84
	ds_read2_b64 v[24:27], v102 offset0:112 offset1:140
	;; [unrolled: 1-line block ×4, first 2 shown]
	v_add_u32_e32 v0, 0x800, v102
	ds_read2_b64 v[36:39], v0 offset0:24 offset1:52
	ds_read2_b64 v[40:43], v0 offset0:80 offset1:108
	;; [unrolled: 1-line block ×3, first 2 shown]
	ds_read_b64 v[45:46], v102 offset:3584
.LBB0_11:
	s_or_b64 exec, exec, s[0:1]
	v_add_u32_e32 v107, 0x220, v75
	v_add_u32_e32 v106, 0x330, v75
	v_add_u32_e32 v105, 0x440, v75
	v_add_u32_e32 v104, 0x550, v75
	v_add_u32_e32 v103, 0x660, v75
	s_waitcnt lgkmcnt(0)
	s_barrier
	s_and_saveexec_b64 s[0:1], vcc
	s_cbranch_execz .LBB0_13
; %bb.12:
	v_sub_f32_e32 v108, v18, v45
	v_mul_f32_e32 v140, 0xbf763a35, v108
	v_sub_f32_e32 v109, v20, v2
	v_add_f32_e32 v124, v46, v19
	v_mov_b32_e32 v75, v140
	v_mul_f32_e32 v141, 0x3f06c442, v109
	v_fmac_f32_e32 v75, 0xbe8c1d8e, v124
	v_add_f32_e32 v125, v3, v21
	v_mov_b32_e32 v76, v141
	v_sub_f32_e32 v110, v22, v0
	v_add_f32_e32 v75, v17, v75
	v_fmac_f32_e32 v76, 0xbf59a7d5, v125
	v_mul_f32_e32 v142, 0x3f2c7751, v110
	v_add_f32_e32 v75, v76, v75
	v_add_f32_e32 v126, v1, v23
	v_mov_b32_e32 v76, v142
	v_sub_f32_e32 v111, v24, v42
	v_fmac_f32_e32 v76, 0x3f3d2fb0, v126
	v_mul_f32_e32 v143, 0xbf65296c, v111
	v_add_f32_e32 v75, v76, v75
	v_add_f32_e32 v127, v43, v25
	v_mov_b32_e32 v76, v143
	v_sub_f32_e32 v112, v26, v40
	v_fmac_f32_e32 v76, 0x3ee437d1, v127
	v_mul_f32_e32 v144, 0xbe3c28d5, v112
	s_mov_b32 s2, 0xbe8c1d8e
	v_add_f32_e32 v75, v76, v75
	v_add_f32_e32 v128, v41, v27
	v_mov_b32_e32 v76, v144
	v_sub_f32_e32 v113, v28, v38
	s_mov_b32 s3, 0xbf59a7d5
	v_fmac_f32_e32 v76, 0xbf7ba420, v128
	v_mul_f32_e32 v145, 0x3f7ee86f, v113
	v_fma_f32 v140, v124, s2, -v140
	s_mov_b32 s8, 0x3f3d2fb0
	v_add_f32_e32 v75, v76, v75
	v_add_f32_e32 v129, v39, v29
	v_mov_b32_e32 v76, v145
	v_sub_f32_e32 v114, v30, v36
	v_add_f32_e32 v140, v17, v140
	v_fma_f32 v141, v125, s3, -v141
	s_mov_b32 s10, 0x3ee437d1
	v_fmac_f32_e32 v76, 0x3dbcf732, v129
	v_mul_f32_e32 v146, 0xbeb8f4ab, v114
	v_add_f32_e32 v140, v141, v140
	v_fma_f32 v141, v126, s8, -v142
	s_mov_b32 s9, 0xbf7ba420
	v_add_f32_e32 v75, v76, v75
	v_add_f32_e32 v130, v37, v31
	v_mov_b32_e32 v76, v146
	v_sub_f32_e32 v115, v32, v34
	v_add_f32_e32 v140, v141, v140
	v_fma_f32 v141, v127, s10, -v143
	s_mov_b32 s11, 0x3dbcf732
	v_fmac_f32_e32 v76, 0x3f6eb680, v130
	v_mul_f32_e32 v147, 0xbf4c4adb, v115
	v_add_f32_e32 v140, v141, v140
	v_fma_f32 v141, v128, s9, -v144
	s_mov_b32 s17, 0x3f6eb680
	v_add_f32_e32 v75, v76, v75
	v_add_f32_e32 v131, v35, v33
	v_mov_b32_e32 v76, v147
	v_sub_f32_e32 v132, v19, v46
	v_add_f32_e32 v140, v141, v140
	v_fma_f32 v141, v129, s11, -v145
	s_mov_b32 s16, 0xbf1a4643
	v_fmac_f32_e32 v76, 0xbf1a4643, v131
	v_add_f32_e32 v116, v45, v18
	v_mul_f32_e32 v148, 0xbf763a35, v132
	v_sub_f32_e32 v133, v21, v3
	v_add_f32_e32 v140, v141, v140
	v_fma_f32 v141, v130, s17, -v146
	v_add_f32_e32 v76, v76, v75
	v_fma_f32 v75, v116, s2, -v148
	v_add_f32_e32 v117, v2, v20
	v_mul_f32_e32 v149, 0x3f06c442, v133
	v_add_f32_e32 v140, v141, v140
	v_fma_f32 v141, v131, s16, -v147
	v_fmac_f32_e32 v148, 0xbe8c1d8e, v116
	v_fma_f32 v77, v117, s3, -v149
	v_sub_f32_e32 v134, v23, v1
	v_add_f32_e32 v141, v141, v140
	v_add_f32_e32 v140, v16, v148
	v_fmac_f32_e32 v149, 0xbf59a7d5, v117
	v_mul_f32_e32 v148, 0x3dbcf732, v124
	v_add_f32_e32 v75, v16, v75
	v_add_f32_e32 v118, v0, v22
	v_mul_f32_e32 v150, 0x3f2c7751, v134
	v_add_f32_e32 v140, v149, v140
	v_mov_b32_e32 v142, v148
	v_mul_f32_e32 v149, 0xbf7ba420, v125
	v_add_f32_e32 v75, v77, v75
	v_fma_f32 v77, v118, s8, -v150
	v_sub_f32_e32 v135, v25, v43
	v_fmac_f32_e32 v150, 0x3f3d2fb0, v118
	v_fmac_f32_e32 v142, 0x3f7ee86f, v108
	v_mov_b32_e32 v143, v149
	v_add_f32_e32 v119, v42, v24
	v_mul_f32_e32 v151, 0xbf65296c, v135
	v_add_f32_e32 v140, v150, v140
	v_add_f32_e32 v142, v17, v142
	v_fmac_f32_e32 v143, 0x3e3c28d5, v109
	v_mul_f32_e32 v150, 0xbe8c1d8e, v126
	v_add_f32_e32 v75, v77, v75
	v_fma_f32 v77, v119, s10, -v151
	v_sub_f32_e32 v136, v27, v41
	v_fmac_f32_e32 v151, 0x3ee437d1, v119
	v_add_f32_e32 v142, v143, v142
	v_mov_b32_e32 v143, v150
	v_add_f32_e32 v120, v40, v26
	v_mul_f32_e32 v152, 0xbe3c28d5, v136
	v_sub_f32_e32 v137, v29, v39
	v_add_f32_e32 v140, v151, v140
	v_fmac_f32_e32 v143, 0xbf763a35, v110
	v_mul_f32_e32 v151, 0x3f6eb680, v127
	v_add_f32_e32 v75, v77, v75
	v_fma_f32 v77, v120, s9, -v152
	v_add_f32_e32 v121, v38, v28
	v_mul_f32_e32 v153, 0x3f7ee86f, v137
	v_sub_f32_e32 v138, v31, v37
	v_fmac_f32_e32 v152, 0xbf7ba420, v120
	v_add_f32_e32 v142, v143, v142
	v_mov_b32_e32 v143, v151
	v_add_f32_e32 v75, v77, v75
	v_fma_f32 v77, v121, s11, -v153
	v_add_f32_e32 v122, v36, v30
	v_mul_f32_e32 v154, 0xbeb8f4ab, v138
	v_sub_f32_e32 v139, v33, v35
	v_add_f32_e32 v140, v152, v140
	v_fmac_f32_e32 v143, 0xbeb8f4ab, v111
	v_mul_f32_e32 v152, 0x3ee437d1, v128
	v_add_f32_e32 v75, v77, v75
	v_fma_f32 v77, v122, s17, -v154
	v_add_f32_e32 v123, v34, v32
	v_mul_f32_e32 v155, 0xbf4c4adb, v139
	v_fmac_f32_e32 v153, 0x3dbcf732, v121
	v_add_f32_e32 v142, v143, v142
	v_mov_b32_e32 v143, v152
	v_add_f32_e32 v75, v77, v75
	v_fma_f32 v77, v123, s16, -v155
	v_mul_f32_e32 v87, 0xbf4c4adb, v108
	v_add_f32_e32 v140, v153, v140
	v_fmac_f32_e32 v143, 0x3f65296c, v112
	v_mul_f32_e32 v153, 0xbf59a7d5, v129
	v_add_f32_e32 v75, v77, v75
	v_mov_b32_e32 v77, v87
	v_mul_f32_e32 v88, 0x3f763a35, v109
	v_fmac_f32_e32 v154, 0x3f6eb680, v122
	v_add_f32_e32 v142, v143, v142
	v_mov_b32_e32 v143, v153
	v_fmac_f32_e32 v77, 0xbf1a4643, v124
	v_mov_b32_e32 v78, v88
	v_add_f32_e32 v140, v154, v140
	v_fmac_f32_e32 v143, 0x3f06c442, v113
	v_mul_f32_e32 v154, 0xbf1a4643, v130
	v_add_f32_e32 v77, v17, v77
	v_fmac_f32_e32 v78, 0xbe8c1d8e, v125
	v_mul_f32_e32 v156, 0xbeb8f4ab, v110
	v_fmac_f32_e32 v155, 0xbf1a4643, v123
	v_add_f32_e32 v142, v143, v142
	v_mov_b32_e32 v143, v154
	v_add_f32_e32 v77, v78, v77
	v_mov_b32_e32 v78, v156
	v_fma_f32 v87, v124, s16, -v87
	v_add_f32_e32 v140, v155, v140
	v_fmac_f32_e32 v143, 0xbf4c4adb, v114
	v_mul_f32_e32 v155, 0x3f3d2fb0, v131
	v_fmac_f32_e32 v78, 0x3f6eb680, v126
	v_mul_f32_e32 v157, 0xbf06c442, v111
	v_add_f32_e32 v87, v17, v87
	v_fma_f32 v88, v125, s2, -v88
	v_add_f32_e32 v142, v143, v142
	v_mov_b32_e32 v143, v155
	v_add_f32_e32 v77, v78, v77
	v_mov_b32_e32 v78, v157
	v_add_f32_e32 v87, v88, v87
	v_fma_f32 v88, v126, s17, -v156
	v_fmac_f32_e32 v143, 0xbf2c7751, v115
	v_mul_f32_e32 v156, 0xbf7ee86f, v132
	v_fmac_f32_e32 v78, 0xbf59a7d5, v127
	v_mul_f32_e32 v158, 0x3f7ee86f, v112
	v_add_f32_e32 v87, v88, v87
	v_fma_f32 v88, v127, s3, -v157
	v_add_f32_e32 v143, v143, v142
	v_mov_b32_e32 v142, v156
	v_mul_f32_e32 v157, 0xbe3c28d5, v133
	v_add_f32_e32 v77, v78, v77
	v_mov_b32_e32 v78, v158
	v_fmac_f32_e32 v142, 0x3dbcf732, v116
	v_mov_b32_e32 v144, v157
	v_fmac_f32_e32 v78, 0x3dbcf732, v128
	v_mul_f32_e32 v159, 0xbf2c7751, v113
	v_add_f32_e32 v87, v88, v87
	v_fma_f32 v88, v128, s11, -v158
	v_add_f32_e32 v142, v16, v142
	v_fmac_f32_e32 v144, 0xbf7ba420, v117
	v_mul_f32_e32 v158, 0x3f763a35, v134
	v_add_f32_e32 v77, v78, v77
	v_mov_b32_e32 v78, v159
	v_add_f32_e32 v142, v144, v142
	v_mov_b32_e32 v144, v158
	v_fmac_f32_e32 v78, 0x3f3d2fb0, v129
	v_mul_f32_e32 v160, 0xbe3c28d5, v114
	v_add_f32_e32 v87, v88, v87
	v_fma_f32 v88, v129, s8, -v159
	v_fmac_f32_e32 v144, 0xbe8c1d8e, v118
	v_mul_f32_e32 v159, 0x3eb8f4ab, v135
	v_add_f32_e32 v77, v78, v77
	v_mov_b32_e32 v78, v160
	v_add_f32_e32 v142, v144, v142
	v_mov_b32_e32 v144, v159
	v_fmac_f32_e32 v78, 0xbf7ba420, v130
	v_mul_f32_e32 v161, 0x3f65296c, v115
	v_add_f32_e32 v87, v88, v87
	v_fma_f32 v88, v130, s9, -v160
	;; [unrolled: 10-line block ×3, first 2 shown]
	v_fmac_f32_e32 v144, 0x3ee437d1, v120
	v_mul_f32_e32 v161, 0xbf06c442, v137
	v_add_f32_e32 v78, v78, v77
	v_fma_f32 v77, v116, s16, -v162
	v_fmac_f32_e32 v162, 0xbf1a4643, v116
	v_add_f32_e32 v142, v144, v142
	v_mov_b32_e32 v144, v161
	v_mul_f32_e32 v163, 0x3f763a35, v133
	v_add_f32_e32 v88, v88, v87
	v_add_f32_e32 v87, v16, v162
	v_fmac_f32_e32 v144, 0xbf59a7d5, v121
	v_mul_f32_e32 v162, 0x3f4c4adb, v138
	v_fma_f32 v79, v117, s2, -v163
	v_fmac_f32_e32 v163, 0xbe8c1d8e, v117
	v_add_f32_e32 v142, v144, v142
	v_mov_b32_e32 v144, v162
	v_add_f32_e32 v77, v16, v77
	v_mul_f32_e32 v164, 0xbeb8f4ab, v134
	v_add_f32_e32 v87, v163, v87
	v_fmac_f32_e32 v144, 0xbf1a4643, v122
	v_mul_f32_e32 v163, 0x3f2c7751, v139
	v_add_f32_e32 v77, v79, v77
	v_fma_f32 v79, v118, s17, -v164
	v_mul_f32_e32 v165, 0xbf06c442, v135
	v_fmac_f32_e32 v164, 0x3f6eb680, v118
	v_add_f32_e32 v142, v144, v142
	v_mov_b32_e32 v144, v163
	v_add_f32_e32 v77, v79, v77
	v_fma_f32 v79, v119, s3, -v165
	v_add_f32_e32 v87, v164, v87
	v_fmac_f32_e32 v165, 0xbf59a7d5, v119
	v_fmac_f32_e32 v144, 0x3f3d2fb0, v123
	v_mul_f32_e32 v164, 0x3ee437d1, v124
	v_mul_f32_e32 v166, 0x3f7ee86f, v136
	v_add_f32_e32 v87, v165, v87
	v_add_f32_e32 v142, v144, v142
	v_mov_b32_e32 v144, v164
	v_mul_f32_e32 v165, 0xbf1a4643, v125
	v_add_f32_e32 v77, v79, v77
	v_fma_f32 v79, v120, s11, -v166
	v_mul_f32_e32 v167, 0xbf2c7751, v137
	v_fmac_f32_e32 v166, 0x3dbcf732, v120
	v_fmac_f32_e32 v144, 0x3f65296c, v108
	v_mov_b32_e32 v145, v165
	v_add_f32_e32 v77, v79, v77
	v_fma_f32 v79, v121, s8, -v167
	v_mul_f32_e32 v168, 0xbe3c28d5, v138
	v_add_f32_e32 v87, v166, v87
	v_add_f32_e32 v144, v17, v144
	v_fmac_f32_e32 v145, 0x3f4c4adb, v109
	v_mul_f32_e32 v166, 0xbf7ba420, v126
	v_add_f32_e32 v77, v79, v77
	v_fma_f32 v79, v122, s9, -v168
	v_mul_f32_e32 v169, 0x3f65296c, v139
	v_fmac_f32_e32 v167, 0x3f3d2fb0, v121
	v_add_f32_e32 v144, v145, v144
	v_mov_b32_e32 v145, v166
	v_add_f32_e32 v77, v79, v77
	v_fma_f32 v79, v123, s10, -v169
	v_mul_f32_e32 v85, 0xbf06c442, v108
	v_add_f32_e32 v87, v167, v87
	v_fmac_f32_e32 v145, 0xbe3c28d5, v110
	v_mul_f32_e32 v167, 0xbe8c1d8e, v127
	v_add_f32_e32 v77, v79, v77
	v_mov_b32_e32 v79, v85
	v_mul_f32_e32 v86, 0x3f65296c, v109
	v_fmac_f32_e32 v168, 0xbf7ba420, v122
	v_add_f32_e32 v144, v145, v144
	v_mov_b32_e32 v145, v167
	v_fmac_f32_e32 v79, 0xbf59a7d5, v124
	v_mov_b32_e32 v80, v86
	v_add_f32_e32 v87, v168, v87
	v_fmac_f32_e32 v145, 0xbf763a35, v111
	v_mul_f32_e32 v168, 0x3f3d2fb0, v128
	v_add_f32_e32 v79, v17, v79
	v_fmac_f32_e32 v80, 0x3ee437d1, v125
	v_mul_f32_e32 v170, 0xbf7ee86f, v110
	v_fmac_f32_e32 v169, 0x3ee437d1, v123
	v_add_f32_e32 v144, v145, v144
	v_mov_b32_e32 v145, v168
	v_add_f32_e32 v79, v80, v79
	v_mov_b32_e32 v80, v170
	v_fma_f32 v85, v124, s3, -v85
	v_add_f32_e32 v87, v169, v87
	v_fmac_f32_e32 v145, 0xbf2c7751, v112
	v_mul_f32_e32 v169, 0x3f6eb680, v129
	v_fmac_f32_e32 v80, 0x3dbcf732, v126
	v_mul_f32_e32 v171, 0x3f4c4adb, v111
	v_add_f32_e32 v85, v17, v85
	v_fma_f32 v86, v125, s10, -v86
	v_add_f32_e32 v144, v145, v144
	v_mov_b32_e32 v145, v169
	v_add_f32_e32 v79, v80, v79
	v_mov_b32_e32 v80, v171
	v_add_f32_e32 v85, v86, v85
	v_fma_f32 v86, v126, s11, -v170
	v_fmac_f32_e32 v145, 0x3eb8f4ab, v113
	v_mul_f32_e32 v170, 0x3dbcf732, v130
	v_fmac_f32_e32 v80, 0xbf1a4643, v127
	v_mul_f32_e32 v172, 0xbeb8f4ab, v112
	v_add_f32_e32 v144, v145, v144
	v_mov_b32_e32 v145, v170
	v_add_f32_e32 v79, v80, v79
	v_mov_b32_e32 v80, v172
	v_add_f32_e32 v85, v86, v85
	v_fma_f32 v86, v127, s16, -v171
	v_fmac_f32_e32 v145, 0x3f7ee86f, v114
	v_mul_f32_e32 v171, 0xbf59a7d5, v131
	v_fmac_f32_e32 v80, 0x3f6eb680, v128
	v_mul_f32_e32 v173, 0xbe3c28d5, v113
	;; [unrolled: 10-line block ×3, first 2 shown]
	v_add_f32_e32 v85, v86, v85
	v_fma_f32 v86, v129, s9, -v173
	v_add_f32_e32 v145, v145, v144
	v_mov_b32_e32 v144, v172
	v_mul_f32_e32 v173, 0xbf4c4adb, v133
	v_add_f32_e32 v19, v19, v17
	v_add_f32_e32 v79, v80, v79
	v_mov_b32_e32 v80, v174
	v_fmac_f32_e32 v144, 0x3ee437d1, v116
	v_mov_b32_e32 v146, v173
	v_add_f32_e32 v19, v21, v19
	v_fmac_f32_e32 v80, 0x3f3d2fb0, v130
	v_mul_f32_e32 v175, 0xbf763a35, v115
	v_add_f32_e32 v85, v86, v85
	v_fma_f32 v86, v130, s8, -v174
	v_add_f32_e32 v144, v16, v144
	v_fmac_f32_e32 v146, 0xbf1a4643, v117
	v_mul_f32_e32 v174, 0x3e3c28d5, v134
	v_add_f32_e32 v19, v23, v19
	v_add_f32_e32 v79, v80, v79
	v_mov_b32_e32 v80, v175
	v_add_f32_e32 v144, v146, v144
	v_mov_b32_e32 v146, v174
	v_add_f32_e32 v19, v25, v19
	v_fmac_f32_e32 v80, 0xbe8c1d8e, v131
	v_mul_f32_e32 v176, 0xbf06c442, v132
	v_add_f32_e32 v85, v86, v85
	v_fma_f32 v86, v131, s2, -v175
	v_fmac_f32_e32 v146, 0xbf7ba420, v118
	v_mul_f32_e32 v175, 0x3f763a35, v135
	v_add_f32_e32 v19, v27, v19
	v_add_f32_e32 v80, v80, v79
	v_fma_f32 v79, v116, s3, -v176
	v_fmac_f32_e32 v176, 0xbf59a7d5, v116
	v_add_f32_e32 v144, v146, v144
	v_mov_b32_e32 v146, v175
	v_add_f32_e32 v19, v29, v19
	v_mul_f32_e32 v177, 0x3f65296c, v133
	v_add_f32_e32 v86, v86, v85
	v_add_f32_e32 v85, v16, v176
	v_fmac_f32_e32 v146, 0xbe8c1d8e, v119
	v_mul_f32_e32 v176, 0x3f2c7751, v136
	v_add_f32_e32 v19, v31, v19
	v_fma_f32 v81, v117, s10, -v177
	v_fmac_f32_e32 v177, 0x3ee437d1, v117
	v_add_f32_e32 v144, v146, v144
	v_mov_b32_e32 v146, v176
	v_add_f32_e32 v19, v33, v19
	v_add_f32_e32 v79, v16, v79
	v_mul_f32_e32 v178, 0xbf7ee86f, v134
	v_add_f32_e32 v85, v177, v85
	v_fmac_f32_e32 v146, 0x3f3d2fb0, v120
	v_mul_f32_e32 v177, 0xbeb8f4ab, v137
	v_add_f32_e32 v19, v35, v19
	v_add_f32_e32 v79, v81, v79
	v_fma_f32 v81, v118, s11, -v178
	v_mul_f32_e32 v179, 0x3f4c4adb, v135
	v_fmac_f32_e32 v178, 0x3dbcf732, v118
	v_add_f32_e32 v144, v146, v144
	v_mov_b32_e32 v146, v177
	v_add_f32_e32 v19, v37, v19
	v_add_f32_e32 v79, v81, v79
	v_fma_f32 v81, v119, s16, -v179
	v_mul_f32_e32 v180, 0xbeb8f4ab, v136
	v_add_f32_e32 v85, v178, v85
	v_fmac_f32_e32 v146, 0x3f6eb680, v121
	v_mul_f32_e32 v178, 0xbf7ee86f, v138
	v_add_f32_e32 v19, v39, v19
	v_add_f32_e32 v79, v81, v79
	v_fma_f32 v81, v120, s17, -v180
	v_mul_f32_e32 v181, 0xbe3c28d5, v137
	v_fmac_f32_e32 v179, 0xbf1a4643, v119
	v_add_f32_e32 v144, v146, v144
	v_mov_b32_e32 v146, v178
	v_add_f32_e32 v19, v41, v19
	v_add_f32_e32 v79, v81, v79
	v_fma_f32 v81, v121, s9, -v181
	;; [unrolled: 14-line block ×3, first 2 shown]
	v_mul_f32_e32 v83, 0xbe3c28d5, v108
	v_add_f32_e32 v85, v180, v85
	v_fmac_f32_e32 v181, 0xbf7ba420, v121
	v_fmac_f32_e32 v146, 0xbf59a7d5, v123
	v_mul_f32_e32 v180, 0x3f3d2fb0, v124
	v_add_f32_e32 v1, v3, v1
	v_add_f32_e32 v3, v18, v16
	;; [unrolled: 1-line block ×3, first 2 shown]
	v_mov_b32_e32 v81, v83
	v_mul_f32_e32 v84, 0x3eb8f4ab, v109
	v_add_f32_e32 v85, v181, v85
	v_add_f32_e32 v144, v146, v144
	v_mov_b32_e32 v146, v180
	v_mul_f32_e32 v181, 0x3dbcf732, v125
	v_add_f32_e32 v3, v20, v3
	v_fmac_f32_e32 v81, 0xbf7ba420, v124
	v_mov_b32_e32 v82, v84
	v_fmac_f32_e32 v182, 0x3f3d2fb0, v122
	v_fmac_f32_e32 v146, 0x3f2c7751, v108
	v_mov_b32_e32 v147, v181
	v_add_f32_e32 v3, v22, v3
	v_add_f32_e32 v81, v17, v81
	v_fmac_f32_e32 v82, 0x3f6eb680, v125
	v_mul_f32_e32 v184, 0xbf06c442, v110
	v_add_f32_e32 v85, v182, v85
	v_add_f32_e32 v146, v17, v146
	v_fmac_f32_e32 v147, 0x3f7ee86f, v109
	v_mul_f32_e32 v182, 0xbf1a4643, v126
	v_add_f32_e32 v3, v24, v3
	v_add_f32_e32 v81, v82, v81
	v_mov_b32_e32 v82, v184
	v_fmac_f32_e32 v183, 0xbe8c1d8e, v123
	v_add_f32_e32 v146, v147, v146
	v_mov_b32_e32 v147, v182
	v_add_f32_e32 v3, v26, v3
	v_fmac_f32_e32 v82, 0xbf59a7d5, v126
	v_mul_f32_e32 v185, 0x3f2c7751, v111
	v_fma_f32 v83, v124, s9, -v83
	v_add_f32_e32 v85, v183, v85
	v_fmac_f32_e32 v147, 0x3f4c4adb, v110
	v_mul_f32_e32 v183, 0xbf7ba420, v127
	v_add_f32_e32 v3, v28, v3
	v_add_f32_e32 v81, v82, v81
	v_mov_b32_e32 v82, v185
	v_add_f32_e32 v83, v17, v83
	v_fma_f32 v84, v125, s17, -v84
	v_add_f32_e32 v146, v147, v146
	v_mov_b32_e32 v147, v183
	v_add_f32_e32 v3, v30, v3
	v_fmac_f32_e32 v82, 0x3f3d2fb0, v127
	v_mul_f32_e32 v186, 0xbf4c4adb, v112
	v_add_f32_e32 v83, v84, v83
	v_fma_f32 v84, v126, s3, -v184
	v_fmac_f32_e32 v147, 0x3e3c28d5, v111
	v_mul_f32_e32 v184, 0xbf59a7d5, v128
	v_add_f32_e32 v3, v32, v3
	v_add_f32_e32 v81, v82, v81
	v_mov_b32_e32 v82, v186
	v_add_f32_e32 v146, v147, v146
	v_mov_b32_e32 v147, v184
	v_add_f32_e32 v3, v34, v3
	v_fmac_f32_e32 v82, 0xbf1a4643, v128
	v_mul_f32_e32 v187, 0x3f65296c, v113
	v_add_f32_e32 v83, v84, v83
	v_fma_f32 v84, v127, s8, -v185
	v_fmac_f32_e32 v147, 0xbf06c442, v112
	v_mul_f32_e32 v185, 0xbe8c1d8e, v129
	v_add_f32_e32 v3, v36, v3
	v_add_f32_e32 v81, v82, v81
	v_mov_b32_e32 v82, v187
	;; [unrolled: 12-line block ×3, first 2 shown]
	v_add_f32_e32 v146, v147, v146
	v_mov_b32_e32 v147, v186
	v_add_f32_e32 v3, v42, v3
	v_fmac_f32_e32 v82, 0xbe8c1d8e, v130
	v_mul_f32_e32 v189, 0x3f7ee86f, v115
	v_add_f32_e32 v83, v84, v83
	v_fma_f32 v84, v129, s10, -v187
	v_fmac_f32_e32 v147, 0xbf65296c, v114
	v_mul_f32_e32 v187, 0x3f6eb680, v131
	v_add_f32_e32 v0, v0, v3
	v_fmac_f32_e32 v148, 0xbf7ee86f, v108
	v_add_f32_e32 v81, v82, v81
	v_mov_b32_e32 v82, v189
	v_add_f32_e32 v146, v147, v146
	v_mov_b32_e32 v147, v187
	v_add_f32_e32 v0, v2, v0
	v_add_f32_e32 v2, v17, v148
	v_fmac_f32_e32 v149, 0xbe3c28d5, v109
	v_fmac_f32_e32 v82, 0x3dbcf732, v131
	v_mul_f32_e32 v190, 0xbe3c28d5, v132
	v_add_f32_e32 v83, v84, v83
	v_fma_f32 v84, v130, s2, -v188
	v_fmac_f32_e32 v147, 0xbeb8f4ab, v115
	v_mul_f32_e32 v188, 0xbf2c7751, v132
	v_add_f32_e32 v2, v149, v2
	v_fmac_f32_e32 v150, 0x3f763a35, v110
	v_add_f32_e32 v82, v82, v81
	v_fma_f32 v81, v116, s9, -v190
	v_add_f32_e32 v83, v84, v83
	v_fma_f32 v84, v131, s11, -v189
	v_fmac_f32_e32 v190, 0xbf7ba420, v116
	v_add_f32_e32 v147, v147, v146
	v_mov_b32_e32 v146, v188
	v_mul_f32_e32 v189, 0xbf7ee86f, v133
	v_add_f32_e32 v2, v150, v2
	v_fmac_f32_e32 v151, 0x3eb8f4ab, v111
	v_add_f32_e32 v84, v84, v83
	v_add_f32_e32 v83, v16, v190
	v_fmac_f32_e32 v146, 0x3f3d2fb0, v116
	v_mov_b32_e32 v190, v189
	v_add_f32_e32 v2, v151, v2
	v_fmac_f32_e32 v152, 0xbf65296c, v112
	v_mul_f32_e32 v191, 0x3eb8f4ab, v133
	v_add_f32_e32 v146, v16, v146
	v_fmac_f32_e32 v190, 0x3dbcf732, v117
	v_add_f32_e32 v2, v152, v2
	v_fmac_f32_e32 v153, 0xbf06c442, v113
	v_fma_f32 v192, v117, s17, -v191
	v_fmac_f32_e32 v191, 0x3f6eb680, v117
	v_add_f32_e32 v146, v190, v146
	v_mul_f32_e32 v190, 0xbf4c4adb, v134
	v_add_f32_e32 v2, v153, v2
	v_fmac_f32_e32 v154, 0x3f4c4adb, v114
	v_add_f32_e32 v81, v16, v81
	v_add_f32_e32 v83, v191, v83
	v_mov_b32_e32 v191, v190
	v_add_f32_e32 v2, v154, v2
	v_fmac_f32_e32 v155, 0x3f2c7751, v115
	v_add_f32_e32 v81, v192, v81
	v_mul_f32_e32 v192, 0xbf06c442, v134
	v_fmac_f32_e32 v191, 0xbf1a4643, v118
	v_add_f32_e32 v3, v155, v2
	v_fma_f32 v2, v116, s11, -v156
	v_fma_f32 v193, v118, s3, -v192
	v_fmac_f32_e32 v192, 0xbf59a7d5, v118
	v_add_f32_e32 v146, v191, v146
	v_mul_f32_e32 v191, 0xbe3c28d5, v135
	v_add_f32_e32 v2, v16, v2
	v_fma_f32 v18, v117, s9, -v157
	v_add_f32_e32 v83, v192, v83
	v_mov_b32_e32 v192, v191
	v_add_f32_e32 v2, v18, v2
	v_fma_f32 v18, v118, s2, -v158
	v_add_f32_e32 v81, v193, v81
	v_mul_f32_e32 v193, 0x3f2c7751, v135
	v_fmac_f32_e32 v192, 0xbf7ba420, v119
	v_add_f32_e32 v2, v18, v2
	v_fma_f32 v18, v119, s17, -v159
	v_fma_f32 v194, v119, s8, -v193
	v_fmac_f32_e32 v193, 0x3f3d2fb0, v119
	v_add_f32_e32 v146, v192, v146
	v_mul_f32_e32 v192, 0x3f06c442, v136
	v_add_f32_e32 v2, v18, v2
	v_fma_f32 v18, v120, s10, -v160
	v_add_f32_e32 v83, v193, v83
	v_mov_b32_e32 v193, v192
	v_add_f32_e32 v2, v18, v2
	v_fma_f32 v18, v121, s3, -v161
	v_add_f32_e32 v81, v194, v81
	v_mul_f32_e32 v194, 0xbf4c4adb, v136
	v_fmac_f32_e32 v193, 0xbf59a7d5, v120
	v_add_f32_e32 v2, v18, v2
	v_fma_f32 v18, v122, s16, -v162
	v_fma_f32 v195, v120, s16, -v194
	v_fmac_f32_e32 v194, 0xbf1a4643, v120
	v_add_f32_e32 v146, v193, v146
	v_mul_f32_e32 v193, 0x3f763a35, v137
	v_add_f32_e32 v2, v18, v2
	v_fma_f32 v18, v123, s8, -v163
	v_fmac_f32_e32 v164, 0xbf65296c, v108
	v_add_f32_e32 v83, v194, v83
	v_mov_b32_e32 v194, v193
	v_add_f32_e32 v2, v18, v2
	v_add_f32_e32 v18, v17, v164
	v_fmac_f32_e32 v165, 0xbf4c4adb, v109
	v_add_f32_e32 v81, v195, v81
	v_mul_f32_e32 v195, 0x3f65296c, v137
	v_fmac_f32_e32 v194, 0xbe8c1d8e, v121
	v_add_f32_e32 v18, v165, v18
	v_fmac_f32_e32 v166, 0x3e3c28d5, v110
	v_fma_f32 v196, v121, s10, -v195
	v_fmac_f32_e32 v195, 0x3ee437d1, v121
	v_add_f32_e32 v146, v194, v146
	v_mul_f32_e32 v194, 0x3f65296c, v138
	v_add_f32_e32 v18, v166, v18
	v_fmac_f32_e32 v167, 0x3f763a35, v111
	v_add_f32_e32 v83, v195, v83
	v_mov_b32_e32 v195, v194
	v_add_f32_e32 v18, v167, v18
	v_fmac_f32_e32 v168, 0x3f2c7751, v112
	v_add_f32_e32 v81, v196, v81
	v_mul_f32_e32 v196, 0xbf763a35, v138
	v_fmac_f32_e32 v195, 0x3ee437d1, v122
	v_add_f32_e32 v18, v168, v18
	v_fmac_f32_e32 v169, 0xbeb8f4ab, v113
	v_fma_f32 v197, v122, s2, -v196
	v_fmac_f32_e32 v196, 0xbe8c1d8e, v122
	v_add_f32_e32 v146, v195, v146
	v_mul_f32_e32 v195, 0x3eb8f4ab, v139
	v_add_f32_e32 v18, v169, v18
	v_fmac_f32_e32 v170, 0xbf7ee86f, v114
	v_add_f32_e32 v83, v196, v83
	v_mov_b32_e32 v196, v195
	v_add_f32_e32 v18, v170, v18
	v_fmac_f32_e32 v171, 0xbf06c442, v115
	v_add_f32_e32 v81, v197, v81
	v_mul_f32_e32 v197, 0x3f7ee86f, v139
	v_fmac_f32_e32 v196, 0x3f6eb680, v123
	v_add_f32_e32 v19, v171, v18
	v_fma_f32 v18, v116, s10, -v172
	v_fma_f32 v198, v123, s11, -v197
	v_fmac_f32_e32 v197, 0x3dbcf732, v123
	v_add_f32_e32 v146, v196, v146
	v_mul_f32_e32 v196, 0x3f6eb680, v124
	v_add_f32_e32 v18, v16, v18
	v_fma_f32 v20, v117, s16, -v173
	v_add_f32_e32 v83, v197, v83
	v_mov_b32_e32 v124, v196
	v_mul_f32_e32 v197, 0x3f3d2fb0, v125
	v_add_f32_e32 v18, v20, v18
	v_fma_f32 v20, v118, s9, -v174
	v_fmac_f32_e32 v124, 0x3eb8f4ab, v108
	v_mov_b32_e32 v125, v197
	v_add_f32_e32 v18, v20, v18
	v_fma_f32 v20, v119, s2, -v175
	v_add_f32_e32 v124, v17, v124
	v_fmac_f32_e32 v125, 0x3f2c7751, v109
	v_mul_f32_e32 v126, 0x3ee437d1, v126
	v_add_f32_e32 v18, v20, v18
	v_fma_f32 v20, v120, s8, -v176
	v_add_f32_e32 v124, v125, v124
	v_mov_b32_e32 v125, v126
	v_add_f32_e32 v18, v20, v18
	v_fma_f32 v20, v121, s17, -v177
	v_fmac_f32_e32 v125, 0x3f65296c, v110
	v_mul_f32_e32 v127, 0x3dbcf732, v127
	v_add_f32_e32 v18, v20, v18
	v_fma_f32 v20, v122, s11, -v178
	v_add_f32_e32 v124, v125, v124
	v_mov_b32_e32 v125, v127
	v_add_f32_e32 v18, v20, v18
	v_fma_f32 v20, v123, s3, -v179
	v_fmac_f32_e32 v180, 0xbf2c7751, v108
	v_fmac_f32_e32 v125, 0x3f7ee86f, v111
	v_mul_f32_e32 v128, 0xbe8c1d8e, v128
	v_add_f32_e32 v18, v20, v18
	v_add_f32_e32 v20, v17, v180
	v_fmac_f32_e32 v181, 0xbf7ee86f, v109
	v_add_f32_e32 v124, v125, v124
	v_mov_b32_e32 v125, v128
	v_add_f32_e32 v20, v181, v20
	v_fmac_f32_e32 v182, 0xbf4c4adb, v110
	v_fmac_f32_e32 v125, 0x3f763a35, v112
	v_mul_f32_e32 v129, 0xbf1a4643, v129
	v_add_f32_e32 v20, v182, v20
	v_fmac_f32_e32 v183, 0xbe3c28d5, v111
	v_add_f32_e32 v124, v125, v124
	v_mov_b32_e32 v125, v129
	v_add_f32_e32 v20, v183, v20
	v_fmac_f32_e32 v184, 0x3f06c442, v112
	v_fmac_f32_e32 v125, 0x3f4c4adb, v113
	v_mul_f32_e32 v130, 0xbf59a7d5, v130
	;; [unrolled: 8-line block ×3, first 2 shown]
	v_add_f32_e32 v20, v186, v20
	v_fmac_f32_e32 v187, 0x3eb8f4ab, v115
	v_add_f32_e32 v124, v125, v124
	v_mov_b32_e32 v125, v131
	v_add_f32_e32 v21, v187, v20
	v_fma_f32 v20, v116, s8, -v188
	v_fmac_f32_e32 v125, 0x3e3c28d5, v115
	v_mul_f32_e32 v132, 0xbeb8f4ab, v132
	v_add_f32_e32 v20, v16, v20
	v_fma_f32 v22, v117, s11, -v189
	v_add_f32_e32 v125, v125, v124
	v_mov_b32_e32 v124, v132
	v_mul_f32_e32 v133, 0xbf2c7751, v133
	v_add_f32_e32 v20, v22, v20
	v_fma_f32 v22, v118, s16, -v190
	v_add_f32_e32 v81, v198, v81
	v_fmac_f32_e32 v124, 0x3f6eb680, v116
	v_mov_b32_e32 v198, v133
	v_add_f32_e32 v20, v22, v20
	v_fma_f32 v22, v119, s9, -v191
	v_add_f32_e32 v124, v16, v124
	v_fmac_f32_e32 v198, 0x3f3d2fb0, v117
	v_mul_f32_e32 v134, 0xbf65296c, v134
	v_add_f32_e32 v20, v22, v20
	v_fma_f32 v22, v120, s3, -v192
	v_add_f32_e32 v124, v198, v124
	v_mov_b32_e32 v198, v134
	v_add_f32_e32 v20, v22, v20
	v_fma_f32 v22, v121, s2, -v193
	v_fmac_f32_e32 v198, 0x3ee437d1, v118
	v_mul_f32_e32 v135, 0xbf7ee86f, v135
	v_add_f32_e32 v20, v22, v20
	v_fma_f32 v22, v122, s10, -v194
	v_add_f32_e32 v124, v198, v124
	v_mov_b32_e32 v198, v135
	v_add_f32_e32 v20, v22, v20
	v_fma_f32 v22, v123, s17, -v195
	v_fmac_f32_e32 v198, 0x3dbcf732, v119
	v_mul_f32_e32 v136, 0xbf763a35, v136
	v_add_f32_e32 v20, v22, v20
	v_fma_f32 v22, v116, s17, -v132
	v_add_f32_e32 v124, v198, v124
	v_mov_b32_e32 v198, v136
	v_add_f32_e32 v16, v16, v22
	v_fma_f32 v22, v117, s8, -v133
	v_fmac_f32_e32 v198, 0xbe8c1d8e, v120
	v_mul_f32_e32 v137, 0xbf4c4adb, v137
	v_fmac_f32_e32 v196, 0xbeb8f4ab, v108
	v_add_f32_e32 v16, v22, v16
	v_fma_f32 v22, v118, s10, -v134
	v_add_f32_e32 v124, v198, v124
	v_mov_b32_e32 v198, v137
	v_add_f32_e32 v17, v17, v196
	v_fmac_f32_e32 v197, 0xbf2c7751, v109
	v_add_f32_e32 v16, v22, v16
	v_fma_f32 v22, v119, s11, -v135
	v_fmac_f32_e32 v198, 0xbf1a4643, v121
	v_mul_f32_e32 v138, 0xbf06c442, v138
	v_add_f32_e32 v17, v197, v17
	v_fmac_f32_e32 v126, 0xbf65296c, v110
	v_add_f32_e32 v16, v22, v16
	v_fma_f32 v22, v120, s2, -v136
	v_add_f32_e32 v124, v198, v124
	v_mov_b32_e32 v198, v138
	v_add_f32_e32 v17, v126, v17
	v_fmac_f32_e32 v127, 0xbf7ee86f, v111
	v_add_f32_e32 v16, v22, v16
	v_fma_f32 v22, v121, s16, -v137
	v_fmac_f32_e32 v198, 0xbf59a7d5, v122
	v_mul_f32_e32 v139, 0xbe3c28d5, v139
	v_add_f32_e32 v17, v127, v17
	v_fmac_f32_e32 v128, 0xbf763a35, v112
	v_add_f32_e32 v16, v22, v16
	v_fma_f32 v22, v122, s3, -v138
	v_add_f32_e32 v124, v198, v124
	v_mov_b32_e32 v198, v139
	v_add_f32_e32 v17, v128, v17
	v_fmac_f32_e32 v129, 0xbf4c4adb, v113
	v_add_f32_e32 v16, v22, v16
	v_fma_f32 v22, v123, s9, -v139
	v_fmac_f32_e32 v198, 0xbf7ba420, v123
	v_add_f32_e32 v17, v129, v17
	v_fmac_f32_e32 v130, 0xbf06c442, v114
	v_add_f32_e32 v16, v22, v16
	v_mul_lo_u16_e32 v22, 17, v89
	v_add_f32_e32 v124, v198, v124
	v_add_f32_e32 v1, v46, v1
	;; [unrolled: 1-line block ×4, first 2 shown]
	v_fmac_f32_e32 v131, 0xbe3c28d5, v115
	v_lshl_add_u32 v22, v22, 3, v92
	v_add_f32_e32 v17, v131, v17
	ds_write2_b64 v22, v[0:1], v[124:125] offset1:1
	ds_write2_b64 v22, v[146:147], v[144:145] offset0:2 offset1:3
	ds_write2_b64 v22, v[142:143], v[140:141] offset0:4 offset1:5
	;; [unrolled: 1-line block ×7, first 2 shown]
	ds_write_b64 v22, v[16:17] offset:128
.LBB0_13:
	s_or_b64 exec, exec, s[0:1]
	s_waitcnt lgkmcnt(0)
	s_barrier
	ds_read2_b64 v[0:3], v93 offset1:34
	ds_read2_b64 v[16:19], v93 offset0:204 offset1:238
	v_add_u32_e32 v40, 0x800, v93
	ds_read2_b64 v[20:23], v40 offset0:16 offset1:50
	ds_read2_b64 v[24:27], v93 offset0:68 offset1:102
	;; [unrolled: 1-line block ×5, first 2 shown]
	s_waitcnt lgkmcnt(4)
	v_mul_f32_e32 v42, v52, v21
	v_mul_f32_e32 v43, v50, v23
	;; [unrolled: 1-line block ×3, first 2 shown]
	v_fmac_f32_e32 v41, v53, v18
	v_mul_f32_e32 v18, v54, v18
	v_fma_f32 v19, v53, v19, -v18
	v_mul_f32_e32 v18, v52, v20
	v_fma_f32 v21, v51, v21, -v18
	;; [unrolled: 2-line block ×3, first 2 shown]
	s_waitcnt lgkmcnt(2)
	v_mul_f32_e32 v18, v48, v28
	v_mul_f32_e32 v45, v48, v29
	v_fma_f32 v29, v47, v29, -v18
	v_mul_f32_e32 v18, v56, v30
	v_mul_f32_e32 v46, v56, v31
	v_fma_f32 v31, v55, v31, -v18
	s_waitcnt lgkmcnt(0)
	v_mul_f32_e32 v18, v60, v36
	v_fmac_f32_e32 v45, v47, v28
	v_mul_f32_e32 v47, v60, v37
	v_fma_f32 v37, v59, v37, -v18
	v_mul_f32_e32 v48, v58, v39
	v_mul_f32_e32 v18, v58, v38
	v_fmac_f32_e32 v42, v51, v20
	v_fmac_f32_e32 v43, v49, v22
	;; [unrolled: 1-line block ×5, first 2 shown]
	v_fma_f32 v39, v57, v39, -v18
	v_sub_f32_e32 v18, v0, v41
	v_sub_f32_e32 v19, v1, v19
	;; [unrolled: 1-line block ×14, first 2 shown]
	v_fma_f32 v0, v0, 2.0, -v18
	v_fma_f32 v1, v1, 2.0, -v19
	;; [unrolled: 1-line block ×14, first 2 shown]
	s_barrier
	ds_write2_b64 v95, v[0:1], v[18:19] offset1:17
	ds_write2_b64 v96, v[2:3], v[20:21] offset1:17
	;; [unrolled: 1-line block ×7, first 2 shown]
	s_waitcnt lgkmcnt(0)
	s_barrier
	ds_read2_b64 v[0:3], v93 offset1:34
	ds_read2_b64 v[16:19], v93 offset0:68 offset1:102
	ds_read2_b64 v[20:23], v93 offset0:136 offset1:170
	;; [unrolled: 1-line block ×6, first 2 shown]
	s_waitcnt lgkmcnt(5)
	v_mul_f32_e32 v41, v13, v17
	v_fmac_f32_e32 v41, v12, v16
	v_mul_f32_e32 v16, v13, v16
	v_fma_f32 v16, v12, v17, -v16
	s_waitcnt lgkmcnt(4)
	v_mul_f32_e32 v17, v15, v21
	v_fmac_f32_e32 v17, v14, v20
	v_mul_f32_e32 v20, v15, v20
	v_fma_f32 v20, v14, v21, -v20
	;; [unrolled: 5-line block ×6, first 2 shown]
	v_mul_f32_e32 v37, v13, v19
	v_mul_f32_e32 v13, v13, v18
	v_fmac_f32_e32 v37, v12, v18
	v_fma_f32 v18, v12, v19, -v13
	v_mul_f32_e32 v19, v15, v23
	v_mul_f32_e32 v12, v15, v22
	v_fmac_f32_e32 v19, v14, v22
	v_fma_f32 v22, v14, v23, -v12
	;; [unrolled: 4-line block ×6, first 2 shown]
	v_add_f32_e32 v4, v41, v33
	v_add_f32_e32 v8, v17, v29
	;; [unrolled: 1-line block ×3, first 2 shown]
	v_sub_f32_e32 v7, v16, v36
	v_add_f32_e32 v9, v20, v32
	v_add_f32_e32 v12, v21, v25
	;; [unrolled: 1-line block ×3, first 2 shown]
	v_sub_f32_e32 v10, v17, v29
	v_sub_f32_e32 v11, v20, v32
	v_add_f32_e32 v13, v24, v28
	v_add_f32_e32 v17, v9, v5
	v_sub_f32_e32 v20, v8, v4
	v_sub_f32_e32 v4, v4, v12
	;; [unrolled: 1-line block ×3, first 2 shown]
	v_add_f32_e32 v12, v12, v16
	v_sub_f32_e32 v6, v41, v33
	v_sub_f32_e32 v14, v25, v21
	;; [unrolled: 1-line block ×6, first 2 shown]
	v_add_f32_e32 v13, v13, v17
	v_add_f32_e32 v0, v0, v12
	;; [unrolled: 1-line block ×4, first 2 shown]
	v_sub_f32_e32 v28, v14, v10
	v_sub_f32_e32 v29, v15, v11
	v_sub_f32_e32 v10, v10, v6
	v_sub_f32_e32 v11, v11, v7
	v_add_f32_e32 v1, v1, v13
	v_mov_b32_e32 v32, v0
	v_sub_f32_e32 v14, v6, v14
	v_sub_f32_e32 v15, v7, v15
	v_add_f32_e32 v6, v24, v6
	v_add_f32_e32 v7, v25, v7
	v_mul_f32_e32 v4, 0x3f4a47b2, v4
	v_mul_f32_e32 v5, 0x3f4a47b2, v5
	;; [unrolled: 1-line block ×6, first 2 shown]
	s_mov_b32 s0, 0xbf5ff5aa
	v_mul_f32_e32 v28, 0xbf5ff5aa, v10
	v_mul_f32_e32 v29, 0xbf5ff5aa, v11
	v_fmac_f32_e32 v32, 0xbf955555, v12
	v_mov_b32_e32 v12, v1
	s_mov_b32 s1, 0x3f3bfb3b
	s_mov_b32 s2, 0xbf3bfb3b
	;; [unrolled: 1-line block ×3, first 2 shown]
	v_fmac_f32_e32 v12, 0xbf955555, v13
	v_fma_f32 v13, v20, s1, -v16
	v_fma_f32 v16, v21, s1, -v17
	;; [unrolled: 1-line block ×3, first 2 shown]
	v_fmac_f32_e32 v4, 0x3d64c772, v8
	v_fma_f32 v8, v21, s2, -v5
	v_fma_f32 v20, v10, s0, -v24
	v_fmac_f32_e32 v24, 0xbeae86e6, v14
	v_fma_f32 v10, v11, s0, -v25
	v_fmac_f32_e32 v25, 0xbeae86e6, v15
	v_fma_f32 v14, v14, s3, -v28
	v_fma_f32 v15, v15, s3, -v29
	v_fmac_f32_e32 v5, 0x3d64c772, v9
	v_add_f32_e32 v21, v4, v32
	v_add_f32_e32 v11, v13, v32
	;; [unrolled: 1-line block ×5, first 2 shown]
	v_fmac_f32_e32 v25, 0xbee1c552, v7
	v_fmac_f32_e32 v20, 0xbee1c552, v6
	;; [unrolled: 1-line block ×5, first 2 shown]
	v_add_f32_e32 v28, v5, v12
	v_fmac_f32_e32 v24, 0xbee1c552, v6
	v_add_f32_e32 v4, v25, v21
	v_add_f32_e32 v6, v15, v16
	v_sub_f32_e32 v7, v17, v14
	v_sub_f32_e32 v8, v11, v10
	v_add_f32_e32 v9, v20, v13
	v_add_f32_e32 v10, v10, v11
	v_sub_f32_e32 v11, v13, v20
	v_sub_f32_e32 v12, v16, v15
	v_add_f32_e32 v13, v14, v17
	v_sub_f32_e32 v14, v21, v25
	v_add_f32_e32 v16, v37, v35
	v_add_f32_e32 v21, v19, v31
	v_sub_f32_e32 v5, v28, v24
	v_add_f32_e32 v15, v24, v28
	v_add_f32_e32 v17, v18, v38
	v_add_f32_e32 v24, v22, v34
	v_add_f32_e32 v25, v23, v27
	v_sub_f32_e32 v23, v27, v23
	v_add_f32_e32 v27, v21, v16
	v_add_f32_e32 v28, v26, v30
	v_sub_f32_e32 v26, v30, v26
	v_add_f32_e32 v29, v24, v17
	v_sub_f32_e32 v30, v21, v16
	v_sub_f32_e32 v16, v16, v25
	;; [unrolled: 1-line block ×3, first 2 shown]
	v_add_f32_e32 v25, v25, v27
	v_sub_f32_e32 v20, v37, v35
	v_sub_f32_e32 v18, v18, v38
	;; [unrolled: 1-line block ×4, first 2 shown]
	v_add_f32_e32 v27, v28, v29
	v_add_f32_e32 v2, v2, v25
	v_sub_f32_e32 v31, v24, v17
	v_sub_f32_e32 v17, v17, v28
	;; [unrolled: 1-line block ×3, first 2 shown]
	v_add_f32_e32 v32, v23, v19
	v_add_f32_e32 v33, v26, v22
	v_sub_f32_e32 v34, v23, v19
	v_sub_f32_e32 v35, v26, v22
	;; [unrolled: 1-line block ×4, first 2 shown]
	v_add_f32_e32 v3, v3, v27
	v_mov_b32_e32 v36, v2
	v_sub_f32_e32 v23, v20, v23
	v_sub_f32_e32 v26, v18, v26
	v_add_f32_e32 v20, v32, v20
	v_add_f32_e32 v18, v33, v18
	v_mul_f32_e32 v16, 0x3f4a47b2, v16
	v_mul_f32_e32 v17, 0x3f4a47b2, v17
	;; [unrolled: 1-line block ×8, first 2 shown]
	v_fmac_f32_e32 v36, 0xbf955555, v25
	v_mov_b32_e32 v25, v3
	v_fmac_f32_e32 v25, 0xbf955555, v27
	v_fma_f32 v27, v30, s1, -v28
	v_fma_f32 v28, v31, s1, -v29
	;; [unrolled: 1-line block ×3, first 2 shown]
	v_fmac_f32_e32 v16, 0x3d64c772, v21
	v_fma_f32 v21, v31, s2, -v17
	v_fmac_f32_e32 v17, 0x3d64c772, v24
	v_fma_f32 v24, v19, s0, -v32
	;; [unrolled: 2-line block ×4, first 2 shown]
	v_fma_f32 v26, v26, s3, -v35
	v_add_f32_e32 v31, v16, v36
	v_add_f32_e32 v34, v17, v25
	;; [unrolled: 1-line block ×6, first 2 shown]
	v_fmac_f32_e32 v32, 0xbee1c552, v20
	v_fmac_f32_e32 v33, 0xbee1c552, v18
	;; [unrolled: 1-line block ×6, first 2 shown]
	v_add_f32_e32 v16, v33, v31
	v_sub_f32_e32 v17, v34, v32
	v_add_f32_e32 v18, v26, v28
	v_sub_f32_e32 v19, v25, v30
	v_sub_f32_e32 v20, v23, v22
	v_add_f32_e32 v21, v24, v27
	v_add_f32_e32 v22, v22, v23
	v_sub_f32_e32 v23, v27, v24
	v_sub_f32_e32 v24, v28, v26
	v_add_f32_e32 v25, v30, v25
	v_sub_f32_e32 v26, v31, v33
	v_add_f32_e32 v27, v32, v34
	s_barrier
	ds_write2_b64 v93, v[0:1], v[4:5] offset1:34
	ds_write2_b64 v93, v[6:7], v[8:9] offset0:68 offset1:102
	ds_write2_b64 v93, v[10:11], v[12:13] offset0:136 offset1:170
	;; [unrolled: 1-line block ×6, first 2 shown]
	s_waitcnt lgkmcnt(0)
	s_barrier
	ds_read2_b64 v[0:3], v93 offset1:34
	ds_read2_b64 v[4:7], v93 offset0:204 offset1:238
	ds_read2_b64 v[8:11], v40 offset0:16 offset1:50
	ds_read2_b64 v[12:15], v93 offset0:68 offset1:102
	ds_read2_b64 v[16:19], v40 offset0:84 offset1:118
	ds_read2_b64 v[20:23], v93 offset0:136 offset1:170
	ds_read2_b64 v[24:27], v40 offset0:152 offset1:186
	s_waitcnt lgkmcnt(5)
	v_mul_f32_e32 v28, v62, v7
	v_fmac_f32_e32 v28, v61, v6
	v_mul_f32_e32 v6, v62, v6
	v_fma_f32 v7, v61, v7, -v6
	s_waitcnt lgkmcnt(4)
	v_mul_f32_e32 v6, v64, v8
	v_mul_f32_e32 v29, v64, v9
	v_fma_f32 v9, v63, v9, -v6
	v_mul_f32_e32 v6, v66, v10
	v_mul_f32_e32 v30, v66, v11
	v_fma_f32 v11, v65, v11, -v6
	s_waitcnt lgkmcnt(2)
	v_mul_f32_e32 v6, v68, v16
	v_mul_f32_e32 v31, v68, v17
	v_fma_f32 v17, v67, v17, -v6
	v_mul_f32_e32 v6, v70, v18
	v_mul_f32_e32 v32, v70, v19
	v_fma_f32 v19, v69, v19, -v6
	s_waitcnt lgkmcnt(0)
	v_mul_f32_e32 v6, v72, v24
	v_fmac_f32_e32 v29, v63, v8
	v_mul_f32_e32 v33, v72, v25
	v_fma_f32 v25, v71, v25, -v6
	v_mul_f32_e32 v6, v74, v26
	v_mul_f32_e32 v34, v74, v27
	v_fma_f32 v27, v73, v27, -v6
	v_sub_f32_e32 v6, v0, v28
	v_sub_f32_e32 v7, v1, v7
	;; [unrolled: 1-line block ×4, first 2 shown]
	v_fmac_f32_e32 v30, v65, v10
	v_fmac_f32_e32 v31, v67, v16
	;; [unrolled: 1-line block ×5, first 2 shown]
	v_fma_f32 v0, v0, 2.0, -v6
	v_fma_f32 v1, v1, 2.0, -v7
	;; [unrolled: 1-line block ×4, first 2 shown]
	v_sub_f32_e32 v10, v12, v30
	v_sub_f32_e32 v11, v13, v11
	;; [unrolled: 1-line block ×10, first 2 shown]
	ds_write2_b64 v102, v[0:1], v[2:3] offset1:34
	v_add_u32_e32 v0, 0x400, v102
	v_fma_f32 v12, v12, 2.0, -v10
	v_fma_f32 v13, v13, 2.0, -v11
	v_fma_f32 v14, v14, 2.0, -v16
	v_fma_f32 v15, v15, 2.0, -v17
	v_fma_f32 v20, v20, 2.0, -v18
	v_fma_f32 v21, v21, 2.0, -v19
	v_fma_f32 v22, v22, 2.0, -v24
	v_fma_f32 v23, v23, 2.0, -v25
	v_fma_f32 v4, v4, 2.0, -v26
	v_fma_f32 v5, v5, 2.0, -v27
	ds_write2_b64 v0, v[6:7], v[8:9] offset0:110 offset1:144
	ds_write_b64 v102, v[12:13] offset:544
	ds_write_b64 v107, v[10:11] offset:1904
	;; [unrolled: 1-line block ×10, first 2 shown]
	s_waitcnt lgkmcnt(0)
	s_barrier
	s_and_b64 exec, exec, vcc
	s_cbranch_execz .LBB0_15
; %bb.14:
	global_load_dwordx2 v[0:1], v90, s[12:13]
	ds_read_b64 v[4:5], v102
	v_mad_u64_u32 v[2:3], s[0:1], s6, v44, 0
	v_mad_u64_u32 v[6:7], s[0:1], s4, v89, 0
	s_waitcnt lgkmcnt(0)
	v_mad_u64_u32 v[8:9], s[2:3], s7, v44, v[3:4]
	s_mov_b32 s0, 0x1135c811
	s_mov_b32 s1, 0x3f6135c8
	v_mad_u64_u32 v[9:10], s[2:3], s5, v89, v[7:8]
	v_mov_b32_e32 v11, s15
	s_mul_i32 s3, s5, 0xe0
	v_mov_b32_e32 v7, v9
	v_lshlrev_b64 v[6:7], 3, v[6:7]
	s_mul_hi_u32 s6, s4, 0xe0
	s_mul_i32 s2, s4, 0xe0
	s_add_i32 s3, s6, s3
	s_waitcnt vmcnt(0)
	v_mul_f32_e32 v3, v5, v1
	v_mul_f32_e32 v1, v4, v1
	v_fmac_f32_e32 v3, v4, v0
	v_fma_f32 v4, v0, v5, -v1
	v_cvt_f64_f32_e32 v[0:1], v3
	v_cvt_f64_f32_e32 v[4:5], v4
	v_mov_b32_e32 v3, v8
	v_lshlrev_b64 v[2:3], 3, v[2:3]
	v_mul_f64 v[0:1], v[0:1], s[0:1]
	v_mul_f64 v[4:5], v[4:5], s[0:1]
	v_add_co_u32_e32 v9, vcc, s14, v2
	v_addc_co_u32_e32 v10, vcc, v11, v3, vcc
	v_lshl_add_u32 v11, v91, 3, v94
	v_cvt_f32_f64_e32 v0, v[0:1]
	v_cvt_f32_f64_e32 v1, v[4:5]
	v_add_co_u32_e32 v4, vcc, v9, v6
	v_addc_co_u32_e32 v5, vcc, v10, v7, vcc
	global_store_dwordx2 v[4:5], v[0:1], off
	global_load_dwordx2 v[6:7], v90, s[12:13] offset:224
	ds_read2_b64 v[0:3], v11 offset0:28 offset1:56
	v_add_co_u32_e32 v4, vcc, s2, v4
	s_waitcnt vmcnt(0) lgkmcnt(0)
	v_mul_f32_e32 v8, v1, v7
	v_mul_f32_e32 v7, v0, v7
	v_fmac_f32_e32 v8, v0, v6
	v_fma_f32 v6, v6, v1, -v7
	v_cvt_f64_f32_e32 v[0:1], v8
	v_cvt_f64_f32_e32 v[6:7], v6
	v_mov_b32_e32 v8, s3
	v_addc_co_u32_e32 v5, vcc, v5, v8, vcc
	v_mul_f64 v[0:1], v[0:1], s[0:1]
	v_mul_f64 v[6:7], v[6:7], s[0:1]
	v_cvt_f32_f64_e32 v0, v[0:1]
	v_cvt_f32_f64_e32 v1, v[6:7]
	global_store_dwordx2 v[4:5], v[0:1], off
	global_load_dwordx2 v[0:1], v90, s[12:13] offset:448
	v_add_co_u32_e32 v4, vcc, s2, v4
	s_waitcnt vmcnt(0)
	v_mul_f32_e32 v6, v3, v1
	v_mul_f32_e32 v1, v2, v1
	v_fmac_f32_e32 v6, v2, v0
	v_fma_f32 v2, v0, v3, -v1
	v_cvt_f64_f32_e32 v[0:1], v6
	v_cvt_f64_f32_e32 v[2:3], v2
	v_mov_b32_e32 v6, s3
	v_addc_co_u32_e32 v5, vcc, v5, v6, vcc
	v_mul_f64 v[0:1], v[0:1], s[0:1]
	v_mul_f64 v[2:3], v[2:3], s[0:1]
	v_cvt_f32_f64_e32 v0, v[0:1]
	v_cvt_f32_f64_e32 v1, v[2:3]
	global_store_dwordx2 v[4:5], v[0:1], off
	global_load_dwordx2 v[6:7], v90, s[12:13] offset:672
	ds_read2_b64 v[0:3], v11 offset0:84 offset1:112
	v_add_co_u32_e32 v4, vcc, s2, v4
	s_waitcnt vmcnt(0) lgkmcnt(0)
	v_mul_f32_e32 v8, v1, v7
	v_mul_f32_e32 v7, v0, v7
	v_fmac_f32_e32 v8, v0, v6
	v_fma_f32 v6, v6, v1, -v7
	v_cvt_f64_f32_e32 v[0:1], v8
	v_cvt_f64_f32_e32 v[6:7], v6
	v_mov_b32_e32 v8, s3
	v_addc_co_u32_e32 v5, vcc, v5, v8, vcc
	v_mul_f64 v[0:1], v[0:1], s[0:1]
	v_mul_f64 v[6:7], v[6:7], s[0:1]
	v_cvt_f32_f64_e32 v0, v[0:1]
	v_cvt_f32_f64_e32 v1, v[6:7]
	global_store_dwordx2 v[4:5], v[0:1], off
	global_load_dwordx2 v[0:1], v90, s[12:13] offset:896
	v_add_co_u32_e32 v4, vcc, s2, v4
	s_waitcnt vmcnt(0)
	v_mul_f32_e32 v6, v3, v1
	v_mul_f32_e32 v1, v2, v1
	v_fmac_f32_e32 v6, v2, v0
	v_fma_f32 v2, v0, v3, -v1
	v_cvt_f64_f32_e32 v[0:1], v6
	v_cvt_f64_f32_e32 v[2:3], v2
	v_mov_b32_e32 v6, s3
	v_addc_co_u32_e32 v5, vcc, v5, v6, vcc
	v_mul_f64 v[0:1], v[0:1], s[0:1]
	v_mul_f64 v[2:3], v[2:3], s[0:1]
	v_cvt_f32_f64_e32 v0, v[0:1]
	v_cvt_f32_f64_e32 v1, v[2:3]
	global_store_dwordx2 v[4:5], v[0:1], off
	global_load_dwordx2 v[6:7], v90, s[12:13] offset:1120
	ds_read2_b64 v[0:3], v11 offset0:140 offset1:168
	v_add_co_u32_e32 v4, vcc, s2, v4
	s_waitcnt vmcnt(0) lgkmcnt(0)
	v_mul_f32_e32 v8, v1, v7
	v_mul_f32_e32 v7, v0, v7
	v_fmac_f32_e32 v8, v0, v6
	v_fma_f32 v6, v6, v1, -v7
	v_cvt_f64_f32_e32 v[0:1], v8
	v_cvt_f64_f32_e32 v[6:7], v6
	v_mov_b32_e32 v8, s3
	v_addc_co_u32_e32 v5, vcc, v5, v8, vcc
	v_mul_f64 v[0:1], v[0:1], s[0:1]
	v_mul_f64 v[6:7], v[6:7], s[0:1]
	v_cvt_f32_f64_e32 v0, v[0:1]
	v_cvt_f32_f64_e32 v1, v[6:7]
	global_store_dwordx2 v[4:5], v[0:1], off
	global_load_dwordx2 v[0:1], v90, s[12:13] offset:1344
	v_add_co_u32_e32 v4, vcc, s2, v4
	s_waitcnt vmcnt(0)
	v_mul_f32_e32 v6, v3, v1
	v_mul_f32_e32 v1, v2, v1
	v_fmac_f32_e32 v6, v2, v0
	v_fma_f32 v2, v0, v3, -v1
	v_cvt_f64_f32_e32 v[0:1], v6
	v_cvt_f64_f32_e32 v[2:3], v2
	v_mov_b32_e32 v6, s3
	v_addc_co_u32_e32 v5, vcc, v5, v6, vcc
	v_mul_f64 v[0:1], v[0:1], s[0:1]
	v_mul_f64 v[2:3], v[2:3], s[0:1]
	v_cvt_f32_f64_e32 v0, v[0:1]
	v_cvt_f32_f64_e32 v1, v[2:3]
	global_store_dwordx2 v[4:5], v[0:1], off
	global_load_dwordx2 v[6:7], v90, s[12:13] offset:1568
	ds_read2_b64 v[0:3], v11 offset0:196 offset1:224
	v_add_co_u32_e32 v4, vcc, s2, v4
	s_waitcnt vmcnt(0) lgkmcnt(0)
	v_mul_f32_e32 v8, v1, v7
	v_mul_f32_e32 v7, v0, v7
	v_fmac_f32_e32 v8, v0, v6
	v_fma_f32 v6, v6, v1, -v7
	v_cvt_f64_f32_e32 v[0:1], v8
	v_cvt_f64_f32_e32 v[6:7], v6
	v_mov_b32_e32 v8, s3
	v_addc_co_u32_e32 v5, vcc, v5, v8, vcc
	v_mul_f64 v[0:1], v[0:1], s[0:1]
	v_mul_f64 v[6:7], v[6:7], s[0:1]
	v_or_b32_e32 v8, 0xe0, v89
	v_cvt_f32_f64_e32 v0, v[0:1]
	v_cvt_f32_f64_e32 v1, v[6:7]
	v_mad_u64_u32 v[6:7], s[6:7], s4, v8, 0
	global_store_dwordx2 v[4:5], v[0:1], off
	global_load_dwordx2 v[0:1], v90, s[12:13] offset:1792
	v_mad_u64_u32 v[7:8], s[6:7], s5, v8, v[7:8]
	v_lshlrev_b64 v[6:7], 3, v[6:7]
	s_waitcnt vmcnt(0)
	v_mul_f32_e32 v12, v3, v1
	v_mul_f32_e32 v1, v2, v1
	v_fmac_f32_e32 v12, v2, v0
	v_fma_f32 v2, v0, v3, -v1
	v_cvt_f64_f32_e32 v[0:1], v12
	v_cvt_f64_f32_e32 v[2:3], v2
	v_mul_f64 v[0:1], v[0:1], s[0:1]
	v_mul_f64 v[2:3], v[2:3], s[0:1]
	v_cvt_f32_f64_e32 v0, v[0:1]
	v_cvt_f32_f64_e32 v1, v[2:3]
	v_add_co_u32_e32 v2, vcc, v9, v6
	v_addc_co_u32_e32 v3, vcc, v10, v7, vcc
	global_store_dwordx2 v[2:3], v[0:1], off
	global_load_dwordx2 v[6:7], v90, s[12:13] offset:2016
	v_add_u32_e32 v0, 0x400, v11
	ds_read2_b64 v[0:3], v0 offset0:124 offset1:152
	s_waitcnt vmcnt(0) lgkmcnt(0)
	v_mul_f32_e32 v8, v1, v7
	v_mul_f32_e32 v7, v0, v7
	v_fmac_f32_e32 v8, v0, v6
	v_fma_f32 v6, v6, v1, -v7
	v_cvt_f64_f32_e32 v[0:1], v8
	v_cvt_f64_f32_e32 v[6:7], v6
	v_mov_b32_e32 v8, 0x1c0
	v_mad_u64_u32 v[4:5], s[6:7], s4, v8, v[4:5]
	v_mul_f64 v[0:1], v[0:1], s[0:1]
	v_mul_f64 v[6:7], v[6:7], s[0:1]
	s_mul_i32 s6, s5, 0x1c0
	v_add_u32_e32 v5, s6, v5
	v_add_u32_e32 v8, 0x800, v11
	v_cvt_f32_f64_e32 v0, v[0:1]
	v_cvt_f32_f64_e32 v1, v[6:7]
	global_store_dwordx2 v[4:5], v[0:1], off
	global_load_dwordx2 v[0:1], v90, s[12:13] offset:2240
	v_add_co_u32_e32 v4, vcc, s2, v4
	s_waitcnt vmcnt(0)
	v_mul_f32_e32 v6, v3, v1
	v_mul_f32_e32 v1, v2, v1
	v_fmac_f32_e32 v6, v2, v0
	v_fma_f32 v2, v0, v3, -v1
	v_cvt_f64_f32_e32 v[0:1], v6
	v_cvt_f64_f32_e32 v[2:3], v2
	v_mov_b32_e32 v6, s3
	v_addc_co_u32_e32 v5, vcc, v5, v6, vcc
	v_mul_f64 v[0:1], v[0:1], s[0:1]
	v_mul_f64 v[2:3], v[2:3], s[0:1]
	v_cvt_f32_f64_e32 v0, v[0:1]
	v_cvt_f32_f64_e32 v1, v[2:3]
	global_store_dwordx2 v[4:5], v[0:1], off
	global_load_dwordx2 v[6:7], v90, s[12:13] offset:2464
	ds_read2_b64 v[0:3], v8 offset0:52 offset1:80
	v_add_co_u32_e32 v4, vcc, s2, v4
	s_waitcnt vmcnt(0) lgkmcnt(0)
	v_mul_f32_e32 v11, v1, v7
	v_mul_f32_e32 v7, v0, v7
	v_fmac_f32_e32 v11, v0, v6
	v_fma_f32 v6, v6, v1, -v7
	v_cvt_f64_f32_e32 v[0:1], v11
	v_cvt_f64_f32_e32 v[6:7], v6
	v_mov_b32_e32 v11, s3
	v_addc_co_u32_e32 v5, vcc, v5, v11, vcc
	v_mul_f64 v[0:1], v[0:1], s[0:1]
	v_mul_f64 v[6:7], v[6:7], s[0:1]
	v_cvt_f32_f64_e32 v0, v[0:1]
	v_cvt_f32_f64_e32 v1, v[6:7]
	global_store_dwordx2 v[4:5], v[0:1], off
	global_load_dwordx2 v[0:1], v90, s[12:13] offset:2688
	v_add_co_u32_e32 v4, vcc, s2, v4
	s_waitcnt vmcnt(0)
	v_mul_f32_e32 v6, v3, v1
	v_mul_f32_e32 v1, v2, v1
	v_fmac_f32_e32 v6, v2, v0
	v_fma_f32 v2, v0, v3, -v1
	v_cvt_f64_f32_e32 v[0:1], v6
	v_cvt_f64_f32_e32 v[2:3], v2
	v_mov_b32_e32 v6, s3
	v_addc_co_u32_e32 v5, vcc, v5, v6, vcc
	v_mul_f64 v[0:1], v[0:1], s[0:1]
	v_mul_f64 v[2:3], v[2:3], s[0:1]
	v_cvt_f32_f64_e32 v0, v[0:1]
	v_cvt_f32_f64_e32 v1, v[2:3]
	global_store_dwordx2 v[4:5], v[0:1], off
	global_load_dwordx2 v[6:7], v90, s[12:13] offset:2912
	ds_read2_b64 v[0:3], v8 offset0:108 offset1:136
	v_add_co_u32_e32 v4, vcc, s2, v4
	s_waitcnt vmcnt(0) lgkmcnt(0)
	v_mul_f32_e32 v11, v1, v7
	v_mul_f32_e32 v7, v0, v7
	v_fmac_f32_e32 v11, v0, v6
	v_fma_f32 v6, v6, v1, -v7
	v_cvt_f64_f32_e32 v[0:1], v11
	v_cvt_f64_f32_e32 v[6:7], v6
	v_mov_b32_e32 v11, s3
	v_addc_co_u32_e32 v5, vcc, v5, v11, vcc
	v_mul_f64 v[0:1], v[0:1], s[0:1]
	v_mul_f64 v[6:7], v[6:7], s[0:1]
	;; [unrolled: 33-line block ×3, first 2 shown]
	v_cvt_f32_f64_e32 v0, v[0:1]
	v_cvt_f32_f64_e32 v1, v[6:7]
	v_or_b32_e32 v6, 0x1c0, v89
	global_store_dwordx2 v[4:5], v[0:1], off
	global_load_dwordx2 v[0:1], v90, s[12:13] offset:3584
	v_mad_u64_u32 v[4:5], s[2:3], s4, v6, 0
	s_waitcnt vmcnt(0)
	v_mul_f32_e32 v7, v3, v1
	v_mul_f32_e32 v1, v2, v1
	v_fmac_f32_e32 v7, v2, v0
	v_fma_f32 v2, v0, v3, -v1
	v_cvt_f64_f32_e32 v[0:1], v7
	v_cvt_f64_f32_e32 v[2:3], v2
	v_mul_f64 v[0:1], v[0:1], s[0:1]
	v_mul_f64 v[2:3], v[2:3], s[0:1]
	v_mad_u64_u32 v[5:6], s[0:1], s5, v6, v[5:6]
	v_lshlrev_b64 v[4:5], 3, v[4:5]
	v_cvt_f32_f64_e32 v0, v[0:1]
	v_cvt_f32_f64_e32 v1, v[2:3]
	v_add_co_u32_e32 v2, vcc, v9, v4
	v_addc_co_u32_e32 v3, vcc, v10, v5, vcc
	global_store_dwordx2 v[2:3], v[0:1], off
.LBB0_15:
	s_endpgm
	.section	.rodata,"a",@progbits
	.p2align	6, 0x0
	.amdhsa_kernel bluestein_single_back_len476_dim1_sp_op_CI_CI
		.amdhsa_group_segment_fixed_size 11424
		.amdhsa_private_segment_fixed_size 0
		.amdhsa_kernarg_size 104
		.amdhsa_user_sgpr_count 6
		.amdhsa_user_sgpr_private_segment_buffer 1
		.amdhsa_user_sgpr_dispatch_ptr 0
		.amdhsa_user_sgpr_queue_ptr 0
		.amdhsa_user_sgpr_kernarg_segment_ptr 1
		.amdhsa_user_sgpr_dispatch_id 0
		.amdhsa_user_sgpr_flat_scratch_init 0
		.amdhsa_user_sgpr_private_segment_size 0
		.amdhsa_uses_dynamic_stack 0
		.amdhsa_system_sgpr_private_segment_wavefront_offset 0
		.amdhsa_system_sgpr_workgroup_id_x 1
		.amdhsa_system_sgpr_workgroup_id_y 0
		.amdhsa_system_sgpr_workgroup_id_z 0
		.amdhsa_system_sgpr_workgroup_info 0
		.amdhsa_system_vgpr_workitem_id 0
		.amdhsa_next_free_vgpr 199
		.amdhsa_next_free_sgpr 18
		.amdhsa_reserve_vcc 1
		.amdhsa_reserve_flat_scratch 0
		.amdhsa_float_round_mode_32 0
		.amdhsa_float_round_mode_16_64 0
		.amdhsa_float_denorm_mode_32 3
		.amdhsa_float_denorm_mode_16_64 3
		.amdhsa_dx10_clamp 1
		.amdhsa_ieee_mode 1
		.amdhsa_fp16_overflow 0
		.amdhsa_exception_fp_ieee_invalid_op 0
		.amdhsa_exception_fp_denorm_src 0
		.amdhsa_exception_fp_ieee_div_zero 0
		.amdhsa_exception_fp_ieee_overflow 0
		.amdhsa_exception_fp_ieee_underflow 0
		.amdhsa_exception_fp_ieee_inexact 0
		.amdhsa_exception_int_div_zero 0
	.end_amdhsa_kernel
	.text
.Lfunc_end0:
	.size	bluestein_single_back_len476_dim1_sp_op_CI_CI, .Lfunc_end0-bluestein_single_back_len476_dim1_sp_op_CI_CI
                                        ; -- End function
	.section	.AMDGPU.csdata,"",@progbits
; Kernel info:
; codeLenInByte = 19272
; NumSgprs: 22
; NumVgprs: 199
; ScratchSize: 0
; MemoryBound: 0
; FloatMode: 240
; IeeeMode: 1
; LDSByteSize: 11424 bytes/workgroup (compile time only)
; SGPRBlocks: 2
; VGPRBlocks: 49
; NumSGPRsForWavesPerEU: 22
; NumVGPRsForWavesPerEU: 199
; Occupancy: 1
; WaveLimiterHint : 1
; COMPUTE_PGM_RSRC2:SCRATCH_EN: 0
; COMPUTE_PGM_RSRC2:USER_SGPR: 6
; COMPUTE_PGM_RSRC2:TRAP_HANDLER: 0
; COMPUTE_PGM_RSRC2:TGID_X_EN: 1
; COMPUTE_PGM_RSRC2:TGID_Y_EN: 0
; COMPUTE_PGM_RSRC2:TGID_Z_EN: 0
; COMPUTE_PGM_RSRC2:TIDIG_COMP_CNT: 0
	.type	__hip_cuid_4c73e97304a04d1d,@object ; @__hip_cuid_4c73e97304a04d1d
	.section	.bss,"aw",@nobits
	.globl	__hip_cuid_4c73e97304a04d1d
__hip_cuid_4c73e97304a04d1d:
	.byte	0                               ; 0x0
	.size	__hip_cuid_4c73e97304a04d1d, 1

	.ident	"AMD clang version 19.0.0git (https://github.com/RadeonOpenCompute/llvm-project roc-6.4.0 25133 c7fe45cf4b819c5991fe208aaa96edf142730f1d)"
	.section	".note.GNU-stack","",@progbits
	.addrsig
	.addrsig_sym __hip_cuid_4c73e97304a04d1d
	.amdgpu_metadata
---
amdhsa.kernels:
  - .args:
      - .actual_access:  read_only
        .address_space:  global
        .offset:         0
        .size:           8
        .value_kind:     global_buffer
      - .actual_access:  read_only
        .address_space:  global
        .offset:         8
        .size:           8
        .value_kind:     global_buffer
      - .actual_access:  read_only
        .address_space:  global
        .offset:         16
        .size:           8
        .value_kind:     global_buffer
      - .actual_access:  read_only
        .address_space:  global
        .offset:         24
        .size:           8
        .value_kind:     global_buffer
      - .actual_access:  read_only
        .address_space:  global
        .offset:         32
        .size:           8
        .value_kind:     global_buffer
      - .offset:         40
        .size:           8
        .value_kind:     by_value
      - .address_space:  global
        .offset:         48
        .size:           8
        .value_kind:     global_buffer
      - .address_space:  global
        .offset:         56
        .size:           8
        .value_kind:     global_buffer
      - .address_space:  global
        .offset:         64
        .size:           8
        .value_kind:     global_buffer
      - .address_space:  global
        .offset:         72
        .size:           8
        .value_kind:     global_buffer
      - .offset:         80
        .size:           4
        .value_kind:     by_value
      - .address_space:  global
        .offset:         88
        .size:           8
        .value_kind:     global_buffer
      - .address_space:  global
        .offset:         96
        .size:           8
        .value_kind:     global_buffer
    .group_segment_fixed_size: 11424
    .kernarg_segment_align: 8
    .kernarg_segment_size: 104
    .language:       OpenCL C
    .language_version:
      - 2
      - 0
    .max_flat_workgroup_size: 102
    .name:           bluestein_single_back_len476_dim1_sp_op_CI_CI
    .private_segment_fixed_size: 0
    .sgpr_count:     22
    .sgpr_spill_count: 0
    .symbol:         bluestein_single_back_len476_dim1_sp_op_CI_CI.kd
    .uniform_work_group_size: 1
    .uses_dynamic_stack: false
    .vgpr_count:     199
    .vgpr_spill_count: 0
    .wavefront_size: 64
amdhsa.target:   amdgcn-amd-amdhsa--gfx906
amdhsa.version:
  - 1
  - 2
...

	.end_amdgpu_metadata
